;; amdgpu-corpus repo=ROCm/rocFFT kind=compiled arch=gfx1030 opt=O3
	.text
	.amdgcn_target "amdgcn-amd-amdhsa--gfx1030"
	.amdhsa_code_object_version 6
	.protected	fft_rtc_fwd_len924_factors_2_2_3_7_11_wgs_44_tpt_44_halfLds_sp_op_CI_CI_unitstride_sbrr_R2C_dirReg ; -- Begin function fft_rtc_fwd_len924_factors_2_2_3_7_11_wgs_44_tpt_44_halfLds_sp_op_CI_CI_unitstride_sbrr_R2C_dirReg
	.globl	fft_rtc_fwd_len924_factors_2_2_3_7_11_wgs_44_tpt_44_halfLds_sp_op_CI_CI_unitstride_sbrr_R2C_dirReg
	.p2align	8
	.type	fft_rtc_fwd_len924_factors_2_2_3_7_11_wgs_44_tpt_44_halfLds_sp_op_CI_CI_unitstride_sbrr_R2C_dirReg,@function
fft_rtc_fwd_len924_factors_2_2_3_7_11_wgs_44_tpt_44_halfLds_sp_op_CI_CI_unitstride_sbrr_R2C_dirReg: ; @fft_rtc_fwd_len924_factors_2_2_3_7_11_wgs_44_tpt_44_halfLds_sp_op_CI_CI_unitstride_sbrr_R2C_dirReg
; %bb.0:
	s_clause 0x2
	s_load_dwordx4 s[12:15], s[4:5], 0x0
	s_load_dwordx4 s[8:11], s[4:5], 0x58
	;; [unrolled: 1-line block ×3, first 2 shown]
	v_mul_u32_u24_e32 v1, 0x5d2, v0
	v_mov_b32_e32 v3, 0
	v_add_nc_u32_sdwa v5, s6, v1 dst_sel:DWORD dst_unused:UNUSED_PAD src0_sel:DWORD src1_sel:WORD_1
	v_mov_b32_e32 v1, 0
	v_mov_b32_e32 v6, v3
	v_mov_b32_e32 v2, 0
	s_waitcnt lgkmcnt(0)
	v_cmp_lt_u64_e64 s0, s[14:15], 2
	s_and_b32 vcc_lo, exec_lo, s0
	s_cbranch_vccnz .LBB0_8
; %bb.1:
	s_load_dwordx2 s[0:1], s[4:5], 0x10
	v_mov_b32_e32 v1, 0
	v_mov_b32_e32 v2, 0
	s_add_u32 s2, s18, 8
	s_addc_u32 s3, s19, 0
	s_add_u32 s6, s16, 8
	s_addc_u32 s7, s17, 0
	v_mov_b32_e32 v61, v2
	v_mov_b32_e32 v60, v1
	s_mov_b64 s[22:23], 1
	s_waitcnt lgkmcnt(0)
	s_add_u32 s20, s0, 8
	s_addc_u32 s21, s1, 0
.LBB0_2:                                ; =>This Inner Loop Header: Depth=1
	s_load_dwordx2 s[24:25], s[20:21], 0x0
                                        ; implicit-def: $vgpr64_vgpr65
	s_mov_b32 s0, exec_lo
	s_waitcnt lgkmcnt(0)
	v_or_b32_e32 v4, s25, v6
	v_cmpx_ne_u64_e32 0, v[3:4]
	s_xor_b32 s1, exec_lo, s0
	s_cbranch_execz .LBB0_4
; %bb.3:                                ;   in Loop: Header=BB0_2 Depth=1
	v_cvt_f32_u32_e32 v4, s24
	v_cvt_f32_u32_e32 v7, s25
	s_sub_u32 s0, 0, s24
	s_subb_u32 s26, 0, s25
	v_fmac_f32_e32 v4, 0x4f800000, v7
	v_rcp_f32_e32 v4, v4
	v_mul_f32_e32 v4, 0x5f7ffffc, v4
	v_mul_f32_e32 v7, 0x2f800000, v4
	v_trunc_f32_e32 v7, v7
	v_fmac_f32_e32 v4, 0xcf800000, v7
	v_cvt_u32_f32_e32 v7, v7
	v_cvt_u32_f32_e32 v4, v4
	v_mul_lo_u32 v8, s0, v7
	v_mul_hi_u32 v9, s0, v4
	v_mul_lo_u32 v10, s26, v4
	v_add_nc_u32_e32 v8, v9, v8
	v_mul_lo_u32 v9, s0, v4
	v_add_nc_u32_e32 v8, v8, v10
	v_mul_hi_u32 v10, v4, v9
	v_mul_lo_u32 v11, v4, v8
	v_mul_hi_u32 v12, v4, v8
	v_mul_hi_u32 v13, v7, v9
	v_mul_lo_u32 v9, v7, v9
	v_mul_hi_u32 v14, v7, v8
	v_mul_lo_u32 v8, v7, v8
	v_add_co_u32 v10, vcc_lo, v10, v11
	v_add_co_ci_u32_e32 v11, vcc_lo, 0, v12, vcc_lo
	v_add_co_u32 v9, vcc_lo, v10, v9
	v_add_co_ci_u32_e32 v9, vcc_lo, v11, v13, vcc_lo
	v_add_co_ci_u32_e32 v10, vcc_lo, 0, v14, vcc_lo
	v_add_co_u32 v8, vcc_lo, v9, v8
	v_add_co_ci_u32_e32 v9, vcc_lo, 0, v10, vcc_lo
	v_add_co_u32 v4, vcc_lo, v4, v8
	v_add_co_ci_u32_e32 v7, vcc_lo, v7, v9, vcc_lo
	v_mul_hi_u32 v8, s0, v4
	v_mul_lo_u32 v10, s26, v4
	v_mul_lo_u32 v9, s0, v7
	v_add_nc_u32_e32 v8, v8, v9
	v_mul_lo_u32 v9, s0, v4
	v_add_nc_u32_e32 v8, v8, v10
	v_mul_hi_u32 v10, v4, v9
	v_mul_lo_u32 v11, v4, v8
	v_mul_hi_u32 v12, v4, v8
	v_mul_hi_u32 v13, v7, v9
	v_mul_lo_u32 v9, v7, v9
	v_mul_hi_u32 v14, v7, v8
	v_mul_lo_u32 v8, v7, v8
	v_add_co_u32 v10, vcc_lo, v10, v11
	v_add_co_ci_u32_e32 v11, vcc_lo, 0, v12, vcc_lo
	v_add_co_u32 v9, vcc_lo, v10, v9
	v_add_co_ci_u32_e32 v9, vcc_lo, v11, v13, vcc_lo
	v_add_co_ci_u32_e32 v10, vcc_lo, 0, v14, vcc_lo
	v_add_co_u32 v8, vcc_lo, v9, v8
	v_add_co_ci_u32_e32 v9, vcc_lo, 0, v10, vcc_lo
	v_add_co_u32 v4, vcc_lo, v4, v8
	v_add_co_ci_u32_e32 v11, vcc_lo, v7, v9, vcc_lo
	v_mul_hi_u32 v13, v5, v4
	v_mad_u64_u32 v[9:10], null, v6, v4, 0
	v_mad_u64_u32 v[7:8], null, v5, v11, 0
	;; [unrolled: 1-line block ×3, first 2 shown]
	v_add_co_u32 v4, vcc_lo, v13, v7
	v_add_co_ci_u32_e32 v7, vcc_lo, 0, v8, vcc_lo
	v_add_co_u32 v4, vcc_lo, v4, v9
	v_add_co_ci_u32_e32 v4, vcc_lo, v7, v10, vcc_lo
	v_add_co_ci_u32_e32 v7, vcc_lo, 0, v12, vcc_lo
	v_add_co_u32 v4, vcc_lo, v4, v11
	v_add_co_ci_u32_e32 v9, vcc_lo, 0, v7, vcc_lo
	v_mul_lo_u32 v10, s25, v4
	v_mad_u64_u32 v[7:8], null, s24, v4, 0
	v_mul_lo_u32 v11, s24, v9
	v_sub_co_u32 v7, vcc_lo, v5, v7
	v_add3_u32 v8, v8, v11, v10
	v_sub_nc_u32_e32 v10, v6, v8
	v_subrev_co_ci_u32_e64 v10, s0, s25, v10, vcc_lo
	v_add_co_u32 v11, s0, v4, 2
	v_add_co_ci_u32_e64 v12, s0, 0, v9, s0
	v_sub_co_u32 v13, s0, v7, s24
	v_sub_co_ci_u32_e32 v8, vcc_lo, v6, v8, vcc_lo
	v_subrev_co_ci_u32_e64 v10, s0, 0, v10, s0
	v_cmp_le_u32_e32 vcc_lo, s24, v13
	v_cmp_eq_u32_e64 s0, s25, v8
	v_cndmask_b32_e64 v13, 0, -1, vcc_lo
	v_cmp_le_u32_e32 vcc_lo, s25, v10
	v_cndmask_b32_e64 v14, 0, -1, vcc_lo
	v_cmp_le_u32_e32 vcc_lo, s24, v7
	;; [unrolled: 2-line block ×3, first 2 shown]
	v_cndmask_b32_e64 v15, 0, -1, vcc_lo
	v_cmp_eq_u32_e32 vcc_lo, s25, v10
	v_cndmask_b32_e64 v7, v15, v7, s0
	v_cndmask_b32_e32 v10, v14, v13, vcc_lo
	v_add_co_u32 v13, vcc_lo, v4, 1
	v_add_co_ci_u32_e32 v14, vcc_lo, 0, v9, vcc_lo
	v_cmp_ne_u32_e32 vcc_lo, 0, v10
	v_cndmask_b32_e32 v8, v14, v12, vcc_lo
	v_cndmask_b32_e32 v10, v13, v11, vcc_lo
	v_cmp_ne_u32_e32 vcc_lo, 0, v7
	v_cndmask_b32_e32 v65, v9, v8, vcc_lo
	v_cndmask_b32_e32 v64, v4, v10, vcc_lo
.LBB0_4:                                ;   in Loop: Header=BB0_2 Depth=1
	s_andn2_saveexec_b32 s0, s1
	s_cbranch_execz .LBB0_6
; %bb.5:                                ;   in Loop: Header=BB0_2 Depth=1
	v_cvt_f32_u32_e32 v4, s24
	s_sub_i32 s1, 0, s24
	v_mov_b32_e32 v65, v3
	v_rcp_iflag_f32_e32 v4, v4
	v_mul_f32_e32 v4, 0x4f7ffffe, v4
	v_cvt_u32_f32_e32 v4, v4
	v_mul_lo_u32 v7, s1, v4
	v_mul_hi_u32 v7, v4, v7
	v_add_nc_u32_e32 v4, v4, v7
	v_mul_hi_u32 v4, v5, v4
	v_mul_lo_u32 v7, v4, s24
	v_add_nc_u32_e32 v8, 1, v4
	v_sub_nc_u32_e32 v7, v5, v7
	v_subrev_nc_u32_e32 v9, s24, v7
	v_cmp_le_u32_e32 vcc_lo, s24, v7
	v_cndmask_b32_e32 v7, v7, v9, vcc_lo
	v_cndmask_b32_e32 v4, v4, v8, vcc_lo
	v_cmp_le_u32_e32 vcc_lo, s24, v7
	v_add_nc_u32_e32 v8, 1, v4
	v_cndmask_b32_e32 v64, v4, v8, vcc_lo
.LBB0_6:                                ;   in Loop: Header=BB0_2 Depth=1
	s_or_b32 exec_lo, exec_lo, s0
	v_mul_lo_u32 v4, v65, s24
	v_mul_lo_u32 v9, v64, s25
	s_load_dwordx2 s[0:1], s[6:7], 0x0
	v_mad_u64_u32 v[7:8], null, v64, s24, 0
	s_load_dwordx2 s[24:25], s[2:3], 0x0
	s_add_u32 s22, s22, 1
	s_addc_u32 s23, s23, 0
	s_add_u32 s2, s2, 8
	s_addc_u32 s3, s3, 0
	s_add_u32 s6, s6, 8
	v_add3_u32 v4, v8, v9, v4
	v_sub_co_u32 v5, vcc_lo, v5, v7
	s_addc_u32 s7, s7, 0
	s_add_u32 s20, s20, 8
	v_sub_co_ci_u32_e32 v4, vcc_lo, v6, v4, vcc_lo
	s_addc_u32 s21, s21, 0
	s_waitcnt lgkmcnt(0)
	v_mul_lo_u32 v6, s0, v4
	v_mul_lo_u32 v7, s1, v5
	v_mad_u64_u32 v[1:2], null, s0, v5, v[1:2]
	v_mul_lo_u32 v4, s24, v4
	v_mul_lo_u32 v8, s25, v5
	v_mad_u64_u32 v[60:61], null, s24, v5, v[60:61]
	v_cmp_ge_u64_e64 s0, s[22:23], s[14:15]
	v_add3_u32 v2, v7, v2, v6
	v_add3_u32 v61, v8, v61, v4
	s_and_b32 vcc_lo, exec_lo, s0
	s_cbranch_vccnz .LBB0_9
; %bb.7:                                ;   in Loop: Header=BB0_2 Depth=1
	v_mov_b32_e32 v5, v64
	v_mov_b32_e32 v6, v65
	s_branch .LBB0_2
.LBB0_8:
	v_mov_b32_e32 v61, v2
	v_mov_b32_e32 v65, v6
	;; [unrolled: 1-line block ×4, first 2 shown]
.LBB0_9:
	s_load_dwordx2 s[0:1], s[4:5], 0x28
	v_mul_hi_u32 v3, 0x5d1745e, v0
	s_lshl_b64 s[4:5], s[14:15], 3
                                        ; implicit-def: $vgpr62
                                        ; implicit-def: $vgpr66
                                        ; implicit-def: $vgpr76
                                        ; implicit-def: $vgpr75
                                        ; implicit-def: $vgpr74
                                        ; implicit-def: $vgpr73
                                        ; implicit-def: $vgpr72
                                        ; implicit-def: $vgpr71
                                        ; implicit-def: $vgpr70
                                        ; implicit-def: $vgpr69
                                        ; implicit-def: $vgpr68
	s_add_u32 s2, s18, s4
	s_addc_u32 s3, s19, s5
	s_waitcnt lgkmcnt(0)
	v_cmp_gt_u64_e32 vcc_lo, s[0:1], v[64:65]
	v_cmp_le_u64_e64 s0, s[0:1], v[64:65]
	s_and_saveexec_b32 s1, s0
	s_xor_b32 s0, exec_lo, s1
	s_cbranch_execz .LBB0_11
; %bb.10:
	v_mul_u32_u24_e32 v1, 44, v3
                                        ; implicit-def: $vgpr3
	v_sub_nc_u32_e32 v62, v0, v1
                                        ; implicit-def: $vgpr0
                                        ; implicit-def: $vgpr1_vgpr2
	v_add_nc_u32_e32 v66, 44, v62
	v_add_nc_u32_e32 v76, 0x58, v62
	;; [unrolled: 1-line block ×10, first 2 shown]
.LBB0_11:
	s_andn2_saveexec_b32 s1, s0
	s_cbranch_execz .LBB0_13
; %bb.12:
	s_add_u32 s4, s16, s4
	s_addc_u32 s5, s17, s5
	v_lshlrev_b64 v[1:2], 3, v[1:2]
	s_load_dwordx2 s[4:5], s[4:5], 0x0
	s_waitcnt lgkmcnt(0)
	v_mul_lo_u32 v6, s5, v64
	v_mul_lo_u32 v7, s4, v65
	v_mad_u64_u32 v[4:5], null, s4, v64, 0
	v_add3_u32 v5, v5, v7, v6
	v_mul_u32_u24_e32 v6, 44, v3
	v_lshlrev_b64 v[3:4], 3, v[4:5]
	v_sub_nc_u32_e32 v62, v0, v6
	v_lshlrev_b32_e32 v42, 3, v62
	v_add_co_u32 v0, s0, s8, v3
	v_add_co_ci_u32_e64 v3, s0, s9, v4, s0
	v_add_nc_u32_e32 v66, 44, v62
	v_add_co_u32 v4, s0, v0, v1
	v_add_co_ci_u32_e64 v3, s0, v3, v2, s0
	v_or_b32_e32 v2, 0x1600, v42
	v_add_co_u32 v0, s0, v4, v42
	v_add_co_ci_u32_e64 v1, s0, 0, v3, s0
	v_add_co_u32 v2, s0, v4, v2
	v_add_co_ci_u32_e64 v3, s0, 0, v3, s0
	;; [unrolled: 2-line block ×5, first 2 shown]
	s_clause 0x14
	global_load_dwordx2 v[4:5], v[0:1], off
	global_load_dwordx2 v[6:7], v[0:1], off offset:352
	global_load_dwordx2 v[8:9], v[0:1], off offset:704
	;; [unrolled: 1-line block ×16, first 2 shown]
	global_load_dwordx2 v[2:3], v[2:3], off
	global_load_dwordx2 v[14:15], v[14:15], off offset:1888
	global_load_dwordx2 v[40:41], v[16:17], off offset:192
	;; [unrolled: 1-line block ×3, first 2 shown]
	v_add_nc_u32_e32 v42, 0, v42
	v_add_nc_u32_e32 v76, 0x58, v62
	;; [unrolled: 1-line block ×13, first 2 shown]
	s_waitcnt vmcnt(19)
	ds_write2_b64 v42, v[4:5], v[6:7] offset1:44
	s_waitcnt vmcnt(17)
	ds_write2_b64 v42, v[8:9], v[10:11] offset0:88 offset1:132
	s_waitcnt vmcnt(15)
	ds_write2_b64 v42, v[18:19], v[0:1] offset0:176 offset1:220
	;; [unrolled: 2-line block ×9, first 2 shown]
	s_waitcnt vmcnt(0)
	ds_write_b64 v42, v[16:17] offset:7040
.LBB0_13:
	s_or_b32 exec_lo, exec_lo, s1
	v_lshlrev_b32_e32 v63, 3, v62
	s_load_dwordx2 s[2:3], s[2:3], 0x0
	s_waitcnt lgkmcnt(0)
	s_barrier
	buffer_gl0_inv
	v_add_nc_u32_e32 v81, 0, v63
	v_lshl_add_u32 v7, v66, 4, 0
	v_lshl_add_u32 v51, v76, 4, 0
	;; [unrolled: 1-line block ×3, first 2 shown]
	v_cmp_gt_u32_e64 s0, 22, v62
	v_add_nc_u32_e32 v0, 0x800, v81
	v_add_nc_u32_e32 v5, 0xc00, v81
	;; [unrolled: 1-line block ×4, first 2 shown]
	ds_read2_b64 v[1:4], v81 offset1:44
	ds_read2_b64 v[10:13], v0 offset0:184 offset1:206
	ds_read2_b64 v[14:17], v5 offset0:122 offset1:166
	;; [unrolled: 1-line block ×10, first 2 shown]
	v_add_nc_u32_e32 v52, v81, v63
	s_waitcnt lgkmcnt(0)
	s_barrier
	buffer_gl0_inv
	v_sub_f32_e32 v5, v1, v12
	v_sub_f32_e32 v6, v2, v13
	;; [unrolled: 1-line block ×6, first 2 shown]
	v_fma_f32 v1, v1, 2.0, -v5
	v_fma_f32 v2, v2, 2.0, -v6
	v_fma_f32 v3, v3, 2.0, -v12
	v_fma_f32 v4, v4, 2.0, -v13
	v_fma_f32 v18, v18, 2.0, -v14
	v_fma_f32 v19, v19, 2.0, -v15
	ds_write2_b64 v52, v[1:2], v[5:6] offset1:1
	ds_write2_b64 v7, v[3:4], v[12:13] offset1:1
	;; [unrolled: 1-line block ×3, first 2 shown]
	v_sub_f32_e32 v1, v28, v30
	v_sub_f32_e32 v2, v29, v31
	;; [unrolled: 1-line block ×13, first 2 shown]
	v_fma_f32 v5, v28, 2.0, -v1
	v_fma_f32 v6, v29, 2.0, -v2
	v_sub_f32_e32 v28, v42, v40
	v_sub_f32_e32 v29, v43, v41
	;; [unrolled: 1-line block ×3, first 2 shown]
	v_fma_f32 v50, v20, 2.0, -v16
	v_fma_f32 v51, v21, 2.0, -v17
	;; [unrolled: 1-line block ×5, first 2 shown]
	v_lshl_add_u32 v7, v75, 4, 0
	v_lshl_add_u32 v46, v73, 4, 0
	v_fma_f32 v20, v10, 2.0, -v22
	v_fma_f32 v21, v11, 2.0, -v23
	v_lshl_add_u32 v47, v72, 4, 0
	v_lshl_add_u32 v48, v71, 4, 0
	;; [unrolled: 1-line block ×3, first 2 shown]
	v_fma_f32 v3, v26, 2.0, -v24
	v_fma_f32 v4, v27, 2.0, -v25
	;; [unrolled: 1-line block ×4, first 2 shown]
	v_lshl_add_u32 v36, v74, 4, 0
	v_fma_f32 v32, v42, 2.0, -v28
	v_fma_f32 v33, v43, 2.0, -v29
	;; [unrolled: 1-line block ×3, first 2 shown]
	ds_write2_b64 v7, v[50:51], v[16:17] offset1:1
	ds_write2_b64 v36, v[3:4], v[24:25] offset1:1
	;; [unrolled: 1-line block ×7, first 2 shown]
	s_and_saveexec_b32 s1, s0
	s_cbranch_execz .LBB0_15
; %bb.14:
	v_lshl_add_u32 v1, v68, 4, 0
	ds_write2_b64 v1, v[20:21], v[22:23] offset1:1
.LBB0_15:
	s_or_b32 exec_lo, exec_lo, s1
	v_lshlrev_b32_e32 v45, 3, v73
	v_lshlrev_b32_e32 v50, 3, v72
	;; [unrolled: 1-line block ×5, first 2 shown]
	v_lshl_add_u32 v84, v74, 3, 0
	v_lshl_add_u32 v87, v66, 3, 0
	v_sub_nc_u32_e32 v10, v46, v45
	v_lshl_add_u32 v86, v76, 3, 0
	v_sub_nc_u32_e32 v11, v47, v50
	;; [unrolled: 2-line block ×3, first 2 shown]
	v_add_nc_u32_e32 v12, 0x1400, v81
	v_sub_nc_u32_e32 v14, v82, v67
	v_sub_nc_u32_e32 v15, v44, v79
	s_waitcnt lgkmcnt(0)
	s_barrier
	buffer_gl0_inv
	ds_read2_b64 v[0:3], v0 offset0:206 offset1:250
	ds_read2_b64 v[4:7], v8 offset0:38 offset1:82
	ds_read_b64 v[30:31], v81
	ds_read_b64 v[28:29], v87
	;; [unrolled: 1-line block ×10, first 2 shown]
	ds_read2_b64 v[16:19], v8 offset0:126 offset1:170
	ds_read2_b64 v[12:15], v12 offset0:86 offset1:130
	;; [unrolled: 1-line block ×3, first 2 shown]
	v_lshlrev_b32_e32 v78, 1, v66
	v_lshlrev_b32_e32 v77, 1, v76
	;; [unrolled: 1-line block ×9, first 2 shown]
	v_lshl_add_u32 v83, v68, 3, 0
	s_and_saveexec_b32 s1, s0
	s_cbranch_execz .LBB0_17
; %bb.16:
	ds_read_b64 v[20:21], v83
	ds_read_b64 v[22:23], v81 offset:7216
.LBB0_17:
	s_or_b32 exec_lo, exec_lo, s1
	v_and_b32_e32 v52, 1, v62
	v_lshlrev_b32_e32 v80, 1, v62
	v_sub_nc_u32_e32 v50, 0, v50
	v_sub_nc_u32_e32 v51, 0, v51
	v_lshlrev_b32_e32 v49, 3, v52
	v_and_or_b32 v78, 0xfc, v78, v52
	v_and_or_b32 v77, 0x1fc, v77, v52
	;; [unrolled: 1-line block ×4, first 2 shown]
	global_load_dwordx2 v[88:89], v49, s[12:13]
	v_sub_nc_u32_e32 v49, 0, v45
	v_sub_nc_u32_e32 v45, 0, v79
	v_and_or_b32 v79, 0x7c, v80, v52
	v_and_or_b32 v57, 0x3fc, v57, v52
	;; [unrolled: 1-line block ×6, first 2 shown]
	v_lshl_add_u32 v79, v79, 3, 0
	v_lshl_add_u32 v78, v78, 3, 0
	;; [unrolled: 1-line block ×5, first 2 shown]
	s_waitcnt vmcnt(0) lgkmcnt(0)
	s_barrier
	buffer_gl0_inv
	v_lshl_add_u32 v57, v57, 3, 0
	v_lshl_add_u32 v56, v56, 3, 0
	v_lshl_add_u32 v55, v55, 3, 0
	v_lshl_add_u32 v54, v54, 3, 0
	v_lshl_add_u32 v53, v53, 3, 0
	v_mul_f32_e32 v80, v89, v1
	v_mul_f32_e32 v90, v89, v0
	;; [unrolled: 1-line block ×22, first 2 shown]
	v_fma_f32 v0, v88, v0, -v80
	v_fmac_f32_e32 v90, v88, v1
	v_fma_f32 v2, v88, v2, -v91
	v_fmac_f32_e32 v92, v88, v3
	;; [unrolled: 2-line block ×11, first 2 shown]
	v_sub_f32_e32 v0, v30, v0
	v_sub_f32_e32 v1, v31, v90
	;; [unrolled: 1-line block ×22, first 2 shown]
	v_fma_f32 v30, v30, 2.0, -v0
	v_fma_f32 v31, v31, 2.0, -v1
	;; [unrolled: 1-line block ×20, first 2 shown]
	ds_write2_b64 v79, v[30:31], v[0:1] offset1:2
	ds_write2_b64 v78, v[28:29], v[4:5] offset1:2
	;; [unrolled: 1-line block ×10, first 2 shown]
	s_and_saveexec_b32 s1, s0
	s_cbranch_execz .LBB0_19
; %bb.18:
	v_lshlrev_b32_e32 v0, 1, v68
	v_fma_f32 v1, v21, 2.0, -v3
	v_and_or_b32 v4, 0x3fc, v0, v52
	v_fma_f32 v0, v20, 2.0, -v2
	v_lshl_add_u32 v4, v4, 3, 0
	ds_write2_b64 v4, v[0:1], v[2:3] offset1:2
.LBB0_19:
	s_or_b32 exec_lo, exec_lo, s1
	v_and_b32_e32 v16, 3, v62
	s_waitcnt lgkmcnt(0)
	s_barrier
	buffer_gl0_inv
	v_lshrrev_b32_e32 v18, 2, v66
	v_lshlrev_b32_e32 v0, 4, v16
	v_and_b32_e32 v59, 0xff, v62
	v_lshrrev_b32_e32 v20, 2, v75
	v_and_b32_e32 v78, 0xff, v66
	v_mul_lo_u32 v80, v18, 12
	global_load_dwordx4 v[4:7], v0, s[12:13] offset:16
	v_mul_lo_u16 v18, 0xab, v59
	v_lshrrev_b32_e32 v19, 2, v76
	v_lshrrev_b32_e32 v39, 2, v74
	;; [unrolled: 1-line block ×4, first 2 shown]
	v_add_nc_u32_e32 v92, 0x1000, v81
	v_add_nc_u32_e32 v93, 0x800, v81
	v_lshrrev_b32_e32 v17, 2, v62
	v_and_b32_e32 v79, 0xff, v76
	v_mul_lo_u32 v91, v20, 12
	v_mul_lo_u16 v59, 0xab, v78
	v_lshrrev_b16 v20, 11, v18
	v_mul_lo_u32 v19, v19, 12
	v_mul_lo_u32 v39, v39, 12
	;; [unrolled: 1-line block ×4, first 2 shown]
	v_add_nc_u32_e32 v90, v46, v49
	ds_read_b64 v[8:9], v81
	ds_read_b64 v[0:1], v85
	v_add_nc_u32_e32 v88, v48, v51
	v_add_nc_u32_e32 v40, 0x1800, v81
	v_add_nc_u32_e32 v89, v47, v50
	ds_read_b64 v[10:11], v86
	ds_read_b64 v[12:13], v87
	ds_read_b64 v[14:15], v81 offset:7040
	ds_read2_b64 v[21:24], v92 offset0:104 offset1:148
	ds_read2_b64 v[25:28], v93 offset0:96 offset1:140
	;; [unrolled: 1-line block ×4, first 2 shown]
	ds_read_b64 v[37:38], v90
	ds_read_b64 v[41:42], v88
	;; [unrolled: 1-line block ×3, first 2 shown]
	ds_read2_b64 v[46:49], v40 offset0:24 offset1:68
	ds_read2_b64 v[50:53], v92 offset0:16 offset1:60
	ds_read_b64 v[56:57], v89
	v_mul_u32_u24_e32 v17, 12, v17
	v_mul_lo_u16 v78, 0xab, v79
	v_lshrrev_b16 v18, 11, v59
	v_or_b32_e32 v59, v80, v16
	v_mul_lo_u16 v80, v20, 12
	v_mov_b32_e32 v77, 6
	v_or_b32_e32 v79, v17, v16
	v_lshrrev_b16 v17, 11, v78
	v_or_b32_e32 v19, v19, v16
	v_or_b32_e32 v78, v91, v16
	v_or_b32_e32 v39, v39, v16
	v_or_b32_e32 v43, v43, v16
	v_or_b32_e32 v58, v58, v16
	v_sub_nc_u16 v16, v62, v80
	v_mul_lo_u16 v91, v18, 12
	v_lshl_add_u32 v94, v19, 3, 0
	v_lshl_add_u32 v79, v79, 3, 0
	v_mul_lo_u16 v80, v17, 12
	v_mul_u32_u24_sdwa v95, v16, v77 dst_sel:DWORD dst_unused:UNUSED_PAD src0_sel:BYTE_0 src1_sel:DWORD
	v_sub_nc_u16 v19, v66, v91
	v_lshl_add_u32 v59, v59, 3, 0
	s_waitcnt vmcnt(0) lgkmcnt(0)
	s_barrier
	v_lshlrev_b32_e32 v91, 3, v95
	buffer_gl0_inv
	v_lshl_add_u32 v78, v78, 3, 0
	v_lshl_add_u32 v39, v39, 3, 0
	;; [unrolled: 1-line block ×4, first 2 shown]
	v_cmp_gt_u32_e64 s1, 40, v62
	v_mul_f32_e32 v95, v5, v42
	v_mul_f32_e32 v96, v5, v41
	;; [unrolled: 1-line block ×28, first 2 shown]
	v_fma_f32 v7, v6, v21, -v97
	v_fmac_f32_e32 v98, v6, v22
	v_fmac_f32_e32 v102, v6, v24
	v_fma_f32 v24, v4, v41, -v95
	v_fmac_f32_e32 v96, v4, v42
	v_fma_f32 v21, v6, v23, -v101
	v_fma_f32 v22, v4, v25, -v99
	v_fmac_f32_e32 v100, v4, v26
	v_fma_f32 v23, v27, v4, -v103
	v_fmac_f32_e32 v104, v28, v4
	;; [unrolled: 2-line block ×3, first 2 shown]
	v_fma_f32 v27, v31, v6, -v109
	v_fma_f32 v30, v50, v4, -v115
	;; [unrolled: 1-line block ×4, first 2 shown]
	v_fmac_f32_e32 v108, v34, v4
	v_fmac_f32_e32 v110, v32, v6
	v_fma_f32 v28, v35, v4, -v111
	v_fmac_f32_e32 v112, v36, v4
	v_fma_f32 v29, v46, v6, -v113
	v_fmac_f32_e32 v114, v47, v6
	v_fmac_f32_e32 v116, v51, v4
	;; [unrolled: 1-line block ×3, first 2 shown]
	v_fma_f32 v32, v52, v4, -v119
	v_fmac_f32_e32 v5, v53, v4
	v_fma_f32 v33, v14, v6, -v120
	v_fmac_f32_e32 v121, v15, v6
	v_add_f32_e32 v14, v24, v7
	v_add_f32_e32 v15, v96, v98
	;; [unrolled: 1-line block ×8, first 2 shown]
	v_sub_f32_e32 v34, v96, v98
	v_add_f32_e32 v6, v9, v96
	v_sub_f32_e32 v35, v24, v7
	v_add_f32_e32 v24, v12, v22
	v_sub_f32_e32 v41, v100, v102
	v_add_f32_e32 v42, v13, v100
	v_sub_f32_e32 v47, v22, v21
	v_add_f32_e32 v22, v10, v23
	v_sub_f32_e32 v49, v104, v106
	v_add_f32_e32 v50, v11, v104
	v_sub_f32_e32 v52, v23, v25
	v_add_f32_e32 v23, v0, v26
	v_add_f32_e32 v53, v26, v27
	v_add_f32_e32 v97, v108, v110
	v_sub_f32_e32 v99, v26, v27
	v_add_f32_e32 v26, v54, v28
	v_add_f32_e32 v100, v28, v29
	v_sub_f32_e32 v101, v112, v114
	;; [unrolled: 3-line block ×4, first 2 shown]
	v_add_f32_e32 v30, v56, v32
	v_add_f32_e32 v113, v32, v33
	v_add_f32_e32 v117, v5, v121
	v_fma_f32 v8, -0.5, v14, v8
	v_fmac_f32_e32 v9, -0.5, v15
	v_fma_f32 v12, -0.5, v36, v12
	v_fmac_f32_e32 v13, -0.5, v46
	v_sub_f32_e32 v95, v108, v110
	v_add_f32_e32 v96, v1, v108
	v_sub_f32_e32 v108, v116, v118
	v_fma_f32 v10, -0.5, v48, v10
	v_fmac_f32_e32 v11, -0.5, v51
	v_fma_f32 v37, -0.5, v107, v37
	v_add_f32_e32 v109, v38, v116
	v_sub_f32_e32 v115, v5, v121
	v_add_f32_e32 v116, v57, v5
	v_sub_f32_e32 v119, v32, v33
	v_add_f32_e32 v4, v4, v7
	v_add_f32_e32 v5, v6, v98
	v_add_f32_e32 v6, v24, v21
	v_add_f32_e32 v21, v23, v27
	v_fma_f32 v0, -0.5, v53, v0
	v_fmac_f32_e32 v1, -0.5, v97
	v_add_f32_e32 v23, v26, v29
	v_fma_f32 v54, -0.5, v100, v54
	v_fmac_f32_e32 v55, -0.5, v104
	v_fmac_f32_e32 v38, -0.5, v111
	v_add_f32_e32 v27, v30, v33
	v_fma_f32 v56, -0.5, v113, v56
	v_fmac_f32_e32 v57, -0.5, v117
	v_fmamk_f32 v29, v34, 0x3f5db3d7, v8
	v_fmamk_f32 v30, v35, 0xbf5db3d7, v9
	v_fmac_f32_e32 v8, 0xbf5db3d7, v34
	v_fmac_f32_e32 v9, 0x3f5db3d7, v35
	v_add_f32_e32 v7, v42, v102
	v_add_f32_e32 v14, v22, v25
	;; [unrolled: 1-line block ×3, first 2 shown]
	v_fmamk_f32 v31, v41, 0x3f5db3d7, v12
	v_fmamk_f32 v32, v47, 0xbf5db3d7, v13
	v_fmac_f32_e32 v12, 0xbf5db3d7, v41
	v_fmac_f32_e32 v13, 0x3f5db3d7, v47
	v_add_f32_e32 v15, v50, v106
	v_fmamk_f32 v33, v49, 0x3f5db3d7, v10
	v_fmamk_f32 v34, v52, 0xbf5db3d7, v11
	;; [unrolled: 1-line block ×3, first 2 shown]
	v_fmac_f32_e32 v37, 0xbf5db3d7, v108
	v_add_f32_e32 v22, v96, v110
	v_add_f32_e32 v24, v103, v114
	;; [unrolled: 1-line block ×4, first 2 shown]
	v_fmac_f32_e32 v10, 0xbf5db3d7, v49
	v_fmac_f32_e32 v11, 0x3f5db3d7, v52
	v_fmamk_f32 v35, v95, 0x3f5db3d7, v0
	v_fmac_f32_e32 v0, 0xbf5db3d7, v95
	v_fmamk_f32 v36, v99, 0xbf5db3d7, v1
	;; [unrolled: 2-line block ×7, first 2 shown]
	v_fmac_f32_e32 v57, 0x3f5db3d7, v119
	ds_write2_b64 v79, v[4:5], v[29:30] offset1:4
	ds_write_b64 v79, v[8:9] offset:64
	ds_write2_b64 v59, v[6:7], v[31:32] offset1:4
	ds_write_b64 v59, v[12:13] offset:64
	;; [unrolled: 2-line block ×7, first 2 shown]
	v_sub_nc_u16 v37, v76, v80
	v_mul_u32_u24_sdwa v0, v19, v77 dst_sel:DWORD dst_unused:UNUSED_PAD src0_sel:BYTE_0 src1_sel:DWORD
	s_waitcnt lgkmcnt(0)
	s_barrier
	buffer_gl0_inv
	v_mul_u32_u24_sdwa v1, v37, v77 dst_sel:DWORD dst_unused:UNUSED_PAD src0_sel:BYTE_0 src1_sel:DWORD
	s_clause 0x1
	global_load_dwordx4 v[4:7], v91, s[12:13] offset:80
	global_load_dwordx4 v[8:11], v91, s[12:13] offset:96
	v_lshlrev_b32_e32 v0, 3, v0
	global_load_dwordx4 v[12:15], v91, s[12:13] offset:112
	v_lshlrev_b32_e32 v1, 3, v1
	s_clause 0x5
	global_load_dwordx4 v[21:24], v0, s[12:13] offset:80
	global_load_dwordx4 v[25:28], v1, s[12:13] offset:80
	;; [unrolled: 1-line block ×6, first 2 shown]
	v_mov_b32_e32 v0, 0x2a0
	v_mov_b32_e32 v38, 3
	v_add_nc_u32_e32 v91, v44, v45
	v_add_nc_u32_e32 v94, 0xc00, v81
	;; [unrolled: 1-line block ×3, first 2 shown]
	v_mul_u32_u24_sdwa v20, v20, v0 dst_sel:DWORD dst_unused:UNUSED_PAD src0_sel:WORD_0 src1_sel:DWORD
	v_mul_u32_u24_sdwa v18, v18, v0 dst_sel:DWORD dst_unused:UNUSED_PAD src0_sel:WORD_0 src1_sel:DWORD
	;; [unrolled: 1-line block ×3, first 2 shown]
	v_lshlrev_b32_sdwa v16, v38, v16 dst_sel:DWORD dst_unused:UNUSED_PAD src0_sel:DWORD src1_sel:BYTE_0
	v_lshlrev_b32_sdwa v17, v38, v19 dst_sel:DWORD dst_unused:UNUSED_PAD src0_sel:DWORD src1_sel:BYTE_0
	ds_read_b64 v[0:1], v85
	v_lshlrev_b32_sdwa v42, v38, v37 dst_sel:DWORD dst_unused:UNUSED_PAD src0_sel:DWORD src1_sel:BYTE_0
	ds_read_b64 v[37:38], v89
	ds_read_b64 v[58:59], v91
	v_add3_u32 v115, 0, v20, v16
	v_add3_u32 v116, 0, v18, v17
	ds_read2_b64 v[16:19], v94 offset0:100 offset1:144
	v_add_nc_u32_e32 v45, 0x400, v81
	v_add3_u32 v117, 0, v41, v42
	ds_read2_b64 v[41:44], v92 offset0:148 offset1:192
	ds_read2_b64 v[54:57], v81 offset1:176
	ds_read2_b64 v[77:80], v39 offset0:108 offset1:152
	ds_read2_b64 v[95:98], v45 offset0:92 offset1:180
	;; [unrolled: 1-line block ×5, first 2 shown]
	ds_read_b64 v[111:112], v86
	ds_read_b64 v[113:114], v87
	s_waitcnt vmcnt(0) lgkmcnt(0)
	s_barrier
	buffer_gl0_inv
	v_mul_f32_e32 v20, v5, v1
	v_mul_f32_e32 v5, v5, v0
	;; [unrolled: 1-line block ×32, first 2 shown]
	v_fma_f32 v0, v4, v0, -v20
	v_fmac_f32_e32 v5, v4, v1
	v_fma_f32 v1, v6, v37, -v39
	v_fmac_f32_e32 v7, v6, v38
	v_fma_f32 v4, v8, v58, -v45
	v_fmac_f32_e32 v9, v8, v59
	v_fma_f32 v6, v10, v18, -v118
	v_fmac_f32_e32 v11, v10, v19
	v_fma_f32 v8, v41, v12, -v119
	v_fmac_f32_e32 v13, v42, v12
	v_fma_f32 v10, v79, v14, -v120
	v_fmac_f32_e32 v15, v80, v14
	v_mul_f32_e32 v129, v17, v47
	v_mul_f32_e32 v47, v16, v47
	;; [unrolled: 1-line block ×4, first 2 shown]
	v_fma_f32 v12, v56, v21, -v121
	v_fmac_f32_e32 v22, v57, v21
	v_fma_f32 v14, v97, v23, -v122
	v_fmac_f32_e32 v24, v98, v23
	;; [unrolled: 2-line block ×10, first 2 shown]
	v_add_f32_e32 v31, v0, v10
	v_add_f32_e32 v33, v5, v15
	v_sub_f32_e32 v0, v0, v10
	v_sub_f32_e32 v5, v5, v15
	v_add_f32_e32 v10, v1, v8
	v_add_f32_e32 v15, v7, v13
	v_fma_f32 v16, v16, v46, -v129
	v_fmac_f32_e32 v47, v17, v46
	v_fma_f32 v17, v105, v48, -v130
	v_fmac_f32_e32 v49, v106, v48
	v_sub_f32_e32 v1, v1, v8
	v_sub_f32_e32 v7, v7, v13
	v_add_f32_e32 v8, v4, v6
	v_add_f32_e32 v13, v9, v11
	v_sub_f32_e32 v4, v6, v4
	v_sub_f32_e32 v6, v11, v9
	v_add_f32_e32 v9, v12, v25
	v_add_f32_e32 v11, v22, v36
	v_sub_f32_e32 v12, v12, v25
	v_add_f32_e32 v25, v14, v23
	v_add_f32_e32 v35, v24, v34
	v_sub_f32_e32 v22, v22, v36
	v_sub_f32_e32 v14, v14, v23
	;; [unrolled: 1-line block ×3, first 2 shown]
	v_add_f32_e32 v24, v20, v21
	v_add_f32_e32 v34, v30, v32
	v_sub_f32_e32 v20, v21, v20
	v_sub_f32_e32 v21, v32, v30
	v_add_f32_e32 v30, v18, v29
	v_add_f32_e32 v32, v26, v53
	v_sub_f32_e32 v18, v18, v29
	v_add_f32_e32 v29, v19, v27
	v_add_f32_e32 v36, v28, v51
	;; [unrolled: 1-line block ×4, first 2 shown]
	v_sub_f32_e32 v19, v19, v27
	v_sub_f32_e32 v27, v28, v51
	v_add_f32_e32 v28, v16, v17
	v_add_f32_e32 v37, v47, v49
	v_sub_f32_e32 v16, v17, v16
	v_sub_f32_e32 v17, v49, v47
	;; [unrolled: 1-line block ×7, first 2 shown]
	v_add_f32_e32 v43, v4, v1
	v_add_f32_e32 v44, v6, v7
	v_sub_f32_e32 v45, v4, v1
	v_sub_f32_e32 v1, v1, v0
	v_add_f32_e32 v47, v25, v9
	v_add_f32_e32 v48, v35, v11
	v_sub_f32_e32 v26, v26, v53
	v_sub_f32_e32 v10, v8, v10
	;; [unrolled: 1-line block ×7, first 2 shown]
	v_add_f32_e32 v51, v20, v14
	v_add_f32_e32 v52, v21, v23
	v_sub_f32_e32 v53, v20, v14
	v_sub_f32_e32 v56, v21, v23
	v_sub_f32_e32 v57, v12, v20
	v_sub_f32_e32 v58, v22, v21
	v_sub_f32_e32 v14, v14, v12
	v_add_f32_e32 v20, v29, v30
	v_add_f32_e32 v21, v36, v32
	;; [unrolled: 1-line block ×4, first 2 shown]
	v_sub_f32_e32 v49, v25, v9
	v_sub_f32_e32 v25, v24, v25
	;; [unrolled: 1-line block ×8, first 2 shown]
	v_add_f32_e32 v36, v16, v19
	v_sub_f32_e32 v80, v16, v19
	v_sub_f32_e32 v19, v19, v18
	;; [unrolled: 1-line block ×5, first 2 shown]
	v_add_f32_e32 v0, v43, v0
	v_add_f32_e32 v38, v44, v5
	v_mul_f32_e32 v5, 0x3f4a47b2, v31
	v_mul_f32_e32 v31, 0x3f4a47b2, v33
	;; [unrolled: 1-line block ×5, first 2 shown]
	v_add_f32_e32 v24, v24, v47
	v_add_f32_e32 v34, v34, v48
	v_sub_f32_e32 v29, v28, v29
	v_add_f32_e32 v79, v17, v27
	v_sub_f32_e32 v95, v17, v27
	v_sub_f32_e32 v27, v27, v26
	v_mul_f32_e32 v33, 0x3d64c772, v10
	v_mul_f32_e32 v44, 0xbf08b237, v46
	;; [unrolled: 1-line block ×3, first 2 shown]
	v_add_f32_e32 v12, v51, v12
	v_add_f32_e32 v47, v52, v22
	v_mul_f32_e32 v11, 0x3f4a47b2, v11
	v_mul_f32_e32 v51, 0x3d64c772, v35
	;; [unrolled: 1-line block ×5, first 2 shown]
	v_add_f32_e32 v28, v28, v20
	v_add_f32_e32 v37, v37, v21
	;; [unrolled: 1-line block ×4, first 2 shown]
	v_sub_f32_e32 v16, v18, v16
	v_mul_f32_e32 v48, 0x3d64c772, v25
	v_mul_f32_e32 v96, 0x3f5ff5aa, v59
	;; [unrolled: 1-line block ×5, first 2 shown]
	v_add_f32_e32 v18, v36, v18
	v_mul_f32_e32 v36, 0x3f4a47b2, v23
	v_fmamk_f32 v15, v15, 0x3d64c772, v31
	v_fma_f32 v39, 0x3f3bfb3b, v42, -v39
	v_fma_f32 v31, 0xbf3bfb3b, v42, -v31
	v_fmamk_f32 v42, v4, 0x3eae86e6, v43
	v_fma_f32 v1, 0x3f5ff5aa, v1, -v43
	v_fma_f32 v43, 0xbeae86e6, v4, -v45
	v_add_f32_e32 v22, v24, v113
	v_add_f32_e32 v23, v34, v114
	v_sub_f32_e32 v17, v26, v17
	v_add_f32_e32 v26, v79, v26
	v_mul_f32_e32 v30, 0x3f4a47b2, v30
	v_mul_f32_e32 v79, 0x3d64c772, v29
	;; [unrolled: 1-line block ×5, first 2 shown]
	v_fmamk_f32 v10, v10, 0x3d64c772, v5
	v_fma_f32 v33, 0x3f3bfb3b, v41, -v33
	v_fma_f32 v41, 0xbf3bfb3b, v41, -v5
	v_fmamk_f32 v54, v6, 0x3eae86e6, v44
	v_fma_f32 v6, 0xbeae86e6, v6, -v46
	v_fmamk_f32 v35, v35, 0x3d64c772, v11
	v_fma_f32 v45, 0x3f3bfb3b, v50, -v51
	v_fma_f32 v11, 0xbf3bfb3b, v50, -v11
	v_fmamk_f32 v46, v57, 0x3eae86e6, v52
	v_fma_f32 v14, 0x3f5ff5aa, v14, -v52
	v_fma_f32 v50, 0xbeae86e6, v57, -v56
	v_add_f32_e32 v4, v28, v111
	v_add_f32_e32 v5, v37, v112
	v_fmamk_f32 v8, v8, 0xbf955555, v20
	v_fmamk_f32 v13, v13, 0xbf955555, v21
	v_fma_f32 v7, 0x3f5ff5aa, v7, -v44
	v_fma_f32 v44, 0x3f3bfb3b, v49, -v48
	v_fmamk_f32 v48, v58, 0x3eae86e6, v53
	v_fma_f32 v51, 0xbeae86e6, v58, -v96
	v_fmamk_f32 v55, v16, 0x3eae86e6, v80
	v_fma_f32 v19, 0x3f5ff5aa, v19, -v80
	v_fma_f32 v58, 0xbeae86e6, v16, -v98
	v_fmamk_f32 v25, v25, 0x3d64c772, v9
	v_fma_f32 v9, 0xbf3bfb3b, v49, -v9
	v_fma_f32 v49, 0x3f5ff5aa, v59, -v53
	v_fmac_f32_e32 v42, 0x3ee1c552, v0
	v_fmac_f32_e32 v1, 0x3ee1c552, v0
	;; [unrolled: 1-line block ×3, first 2 shown]
	v_fmamk_f32 v0, v24, 0xbf955555, v22
	v_fmamk_f32 v16, v34, 0xbf955555, v23
	;; [unrolled: 1-line block ×4, first 2 shown]
	v_fma_f32 v52, 0x3f3bfb3b, v77, -v79
	v_fma_f32 v53, 0x3f3bfb3b, v78, -v97
	;; [unrolled: 1-line block ×4, first 2 shown]
	v_fmamk_f32 v56, v17, 0x3eae86e6, v95
	v_fma_f32 v57, 0x3f5ff5aa, v27, -v95
	v_fma_f32 v59, 0xbeae86e6, v17, -v99
	v_fmac_f32_e32 v54, 0x3ee1c552, v38
	v_fmac_f32_e32 v46, 0x3ee1c552, v12
	;; [unrolled: 1-line block ×4, first 2 shown]
	v_fmamk_f32 v12, v28, 0xbf955555, v4
	v_fmamk_f32 v17, v37, 0xbf955555, v5
	v_add_f32_e32 v10, v10, v8
	v_add_f32_e32 v15, v15, v13
	v_fmac_f32_e32 v7, 0x3ee1c552, v38
	v_fmac_f32_e32 v6, 0x3ee1c552, v38
	;; [unrolled: 1-line block ×5, first 2 shown]
	v_add_f32_e32 v18, v33, v8
	v_add_f32_e32 v33, v39, v13
	;; [unrolled: 1-line block ×4, first 2 shown]
	v_fmac_f32_e32 v48, 0x3ee1c552, v47
	v_fmac_f32_e32 v49, 0x3ee1c552, v47
	;; [unrolled: 1-line block ×3, first 2 shown]
	v_add_f32_e32 v47, v25, v0
	v_add_f32_e32 v79, v35, v16
	;; [unrolled: 1-line block ×5, first 2 shown]
	v_fmac_f32_e32 v56, 0x3ee1c552, v26
	v_fmac_f32_e32 v57, 0x3ee1c552, v26
	;; [unrolled: 1-line block ×3, first 2 shown]
	v_add_f32_e32 v45, v45, v16
	v_add_f32_e32 v80, v29, v12
	;; [unrolled: 1-line block ×8, first 2 shown]
	v_sub_f32_e32 v25, v15, v42
	v_add_f32_e32 v26, v6, v8
	v_sub_f32_e32 v27, v13, v43
	v_sub_f32_e32 v28, v18, v7
	v_add_f32_e32 v29, v1, v33
	v_add_f32_e32 v30, v7, v18
	v_sub_f32_e32 v31, v33, v1
	v_sub_f32_e32 v32, v8, v6
	v_add_f32_e32 v33, v43, v13
	v_sub_f32_e32 v34, v10, v54
	v_add_f32_e32 v35, v42, v15
	v_add_f32_e32 v36, v48, v47
	v_sub_f32_e32 v37, v79, v46
	v_add_f32_e32 v38, v51, v0
	v_sub_f32_e32 v39, v9, v50
	v_sub_f32_e32 v41, v44, v49
	v_add_f32_e32 v42, v14, v45
	v_add_f32_e32 v77, v49, v44
	v_sub_f32_e32 v78, v45, v14
	v_sub_f32_e32 v8, v0, v51
	v_add_f32_e32 v9, v50, v9
	v_sub_f32_e32 v10, v47, v48
	v_add_f32_e32 v11, v46, v79
	v_add_f32_e32 v6, v56, v80
	v_sub_f32_e32 v7, v95, v55
	v_add_f32_e32 v12, v59, v53
	v_sub_f32_e32 v13, v96, v58
	v_sub_f32_e32 v14, v16, v57
	v_add_f32_e32 v15, v19, v52
	v_add_f32_e32 v16, v57, v16
	v_sub_f32_e32 v17, v52, v19
	v_sub_f32_e32 v18, v53, v59
	v_add_f32_e32 v19, v58, v96
	v_sub_f32_e32 v0, v80, v56
	v_add_f32_e32 v1, v55, v95
	ds_write2_b64 v115, v[20:21], v[24:25] offset1:12
	ds_write2_b64 v115, v[26:27], v[28:29] offset0:24 offset1:36
	ds_write2_b64 v115, v[30:31], v[32:33] offset0:48 offset1:60
	ds_write_b64 v115, v[34:35] offset:576
	ds_write2_b64 v116, v[22:23], v[36:37] offset1:12
	ds_write2_b64 v116, v[38:39], v[41:42] offset0:24 offset1:36
	ds_write2_b64 v116, v[77:78], v[8:9] offset0:48 offset1:60
	ds_write_b64 v116, v[10:11] offset:576
	;; [unrolled: 4-line block ×3, first 2 shown]
	s_waitcnt lgkmcnt(0)
	s_barrier
	buffer_gl0_inv
	ds_read2_b64 v[20:23], v81 offset1:84
	ds_read2_b64 v[36:39], v81 offset0:168 offset1:252
	ds_read2_b64 v[32:35], v93 offset0:80 offset1:164
	;; [unrolled: 1-line block ×4, first 2 shown]
	ds_read_b64 v[79:80], v81 offset:6720
	s_and_saveexec_b32 s4, s1
	s_cbranch_execz .LBB0_21
; %bb.20:
	ds_read_b64 v[77:78], v87
	ds_read2_b64 v[8:11], v81 offset0:128 offset1:212
	ds_read2_b64 v[4:7], v93 offset0:40 offset1:124
	;; [unrolled: 1-line block ×5, first 2 shown]
.LBB0_21:
	s_or_b32 exec_lo, exec_lo, s4
	v_mul_u32_u24_e32 v40, 10, v62
	v_lshlrev_b32_e32 v56, 3, v40
	s_clause 0x4
	global_load_dwordx4 v[52:55], v56, s[12:13] offset:656
	global_load_dwordx4 v[48:51], v56, s[12:13] offset:672
	;; [unrolled: 1-line block ×5, first 2 shown]
	s_waitcnt vmcnt(0) lgkmcnt(0)
	s_barrier
	buffer_gl0_inv
	v_mul_f32_e32 v95, v53, v23
	v_mul_f32_e32 v53, v53, v22
	;; [unrolled: 1-line block ×13, first 2 shown]
	v_fma_f32 v22, v52, v22, -v95
	v_fmac_f32_e32 v53, v52, v23
	v_mul_f32_e32 v97, v49, v39
	v_mul_f32_e32 v49, v49, v38
	;; [unrolled: 1-line block ×7, first 2 shown]
	v_fma_f32 v23, v54, v36, -v96
	v_fmac_f32_e32 v55, v54, v37
	v_fmac_f32_e32 v47, v46, v29
	v_fma_f32 v29, v40, v30, -v101
	v_fmac_f32_e32 v41, v40, v31
	v_fmac_f32_e32 v43, v42, v25
	v_fma_f32 v37, v26, v56, -v103
	v_fma_f32 v40, v79, v58, -v104
	v_fmac_f32_e32 v59, v80, v58
	v_add_f32_e32 v25, v22, v20
	v_add_f32_e32 v26, v53, v21
	v_fma_f32 v36, v48, v38, -v97
	v_fmac_f32_e32 v49, v48, v39
	v_fma_f32 v32, v50, v32, -v98
	v_fmac_f32_e32 v51, v50, v33
	;; [unrolled: 2-line block ×3, first 2 shown]
	v_fma_f32 v28, v46, v28, -v100
	v_fma_f32 v24, v42, v24, -v102
	v_fmac_f32_e32 v57, v27, v56
	v_add_f32_e32 v27, v22, v40
	v_sub_f32_e32 v22, v22, v40
	v_sub_f32_e32 v31, v53, v59
	v_add_f32_e32 v34, v23, v37
	v_sub_f32_e32 v38, v23, v37
	v_add_f32_e32 v23, v25, v23
	v_add_f32_e32 v25, v26, v55
	;; [unrolled: 1-line block ×4, first 2 shown]
	v_sub_f32_e32 v39, v55, v57
	v_sub_f32_e32 v46, v36, v24
	;; [unrolled: 1-line block ×7, first 2 shown]
	v_mul_f32_e32 v26, 0xbf0a6770, v31
	v_mul_f32_e32 v55, 0xbf0a6770, v22
	;; [unrolled: 1-line block ×9, first 2 shown]
	v_add_f32_e32 v23, v23, v36
	v_add_f32_e32 v25, v25, v49
	v_mul_f32_e32 v31, 0xbe903f40, v31
	v_add_f32_e32 v42, v36, v24
	v_add_f32_e32 v44, v49, v43
	;; [unrolled: 1-line block ×6, first 2 shown]
	v_mul_f32_e32 v101, 0xbf68dda4, v39
	v_mul_f32_e32 v102, 0xbf68dda4, v38
	;; [unrolled: 1-line block ×40, first 2 shown]
	v_fma_f32 v36, 0x3f575c64, v27, -v26
	v_fmamk_f32 v49, v30, 0x3f575c64, v55
	v_fma_f32 v55, 0x3f575c64, v30, -v55
	v_fma_f32 v133, 0x3ed4b147, v27, -v95
	v_fmamk_f32 v134, v30, 0x3ed4b147, v96
	v_fmac_f32_e32 v95, 0x3ed4b147, v27
	v_fma_f32 v96, 0x3ed4b147, v30, -v96
	v_fma_f32 v135, 0xbe11bafb, v27, -v97
	v_fmamk_f32 v136, v30, 0xbe11bafb, v98
	v_fmac_f32_e32 v97, 0xbe11bafb, v27
	;; [unrolled: 4-line block ×3, first 2 shown]
	v_fma_f32 v100, 0xbf27a4f4, v30, -v100
	v_fmamk_f32 v140, v30, 0xbf75a155, v22
	v_fma_f32 v22, 0xbf75a155, v30, -v22
	v_add_f32_e32 v23, v23, v32
	v_add_f32_e32 v25, v25, v51
	v_fma_f32 v139, 0xbf75a155, v27, -v31
	v_fmac_f32_e32 v26, 0x3f575c64, v27
	v_fmac_f32_e32 v31, 0xbf75a155, v27
	v_fma_f32 v27, 0x3ed4b147, v34, -v101
	v_fmamk_f32 v30, v35, 0x3ed4b147, v102
	v_fmac_f32_e32 v101, 0x3ed4b147, v34
	v_fma_f32 v102, 0x3ed4b147, v35, -v102
	v_fma_f32 v141, 0xbf27a4f4, v34, -v103
	v_fmamk_f32 v142, v35, 0xbf27a4f4, v104
	v_fmac_f32_e32 v103, 0xbf27a4f4, v34
	v_fma_f32 v104, 0xbf27a4f4, v35, -v104
	v_fma_f32 v143, 0xbf75a155, v34, -v105
	v_fmamk_f32 v144, v35, 0xbf75a155, v106
	v_fmac_f32_e32 v105, 0xbf75a155, v34
	v_fma_f32 v106, 0xbf75a155, v35, -v106
	v_fma_f32 v145, 0xbe11bafb, v34, -v107
	v_fmamk_f32 v146, v35, 0xbe11bafb, v108
	v_fmac_f32_e32 v107, 0xbe11bafb, v34
	v_fma_f32 v108, 0xbe11bafb, v35, -v108
	v_fma_f32 v147, 0x3f575c64, v34, -v39
	v_fmamk_f32 v148, v35, 0x3f575c64, v38
	v_fmac_f32_e32 v39, 0x3f575c64, v34
	v_fma_f32 v34, 0x3f575c64, v35, -v38
	v_fma_f32 v35, 0xbe11bafb, v42, -v109
	v_fmamk_f32 v38, v44, 0xbe11bafb, v110
	v_fmac_f32_e32 v109, 0xbe11bafb, v42
	v_fma_f32 v110, 0xbe11bafb, v44, -v110
	v_fma_f32 v149, 0xbf75a155, v42, -v111
	v_fmamk_f32 v150, v44, 0xbf75a155, v112
	v_fmac_f32_e32 v111, 0xbf75a155, v42
	v_fma_f32 v112, 0xbf75a155, v44, -v112
	v_fma_f32 v151, 0x3ed4b147, v42, -v113
	v_fmamk_f32 v152, v44, 0x3ed4b147, v114
	v_fmac_f32_e32 v113, 0x3ed4b147, v42
	v_fma_f32 v114, 0x3ed4b147, v44, -v114
	v_fma_f32 v153, 0x3f575c64, v42, -v115
	v_fmamk_f32 v154, v44, 0x3f575c64, v116
	v_fmac_f32_e32 v115, 0x3f575c64, v42
	v_fma_f32 v116, 0x3f575c64, v44, -v116
	v_fma_f32 v155, 0xbf27a4f4, v42, -v48
	v_fmamk_f32 v156, v44, 0xbf27a4f4, v46
	v_fmac_f32_e32 v48, 0xbf27a4f4, v42
	v_fma_f32 v42, 0xbf27a4f4, v44, -v46
	v_fma_f32 v44, 0xbf27a4f4, v50, -v117
	v_fmamk_f32 v46, v52, 0xbf27a4f4, v118
	v_fmac_f32_e32 v117, 0xbf27a4f4, v50
	v_fma_f32 v118, 0xbf27a4f4, v52, -v118
	v_fma_f32 v157, 0xbe11bafb, v50, -v119
	v_fmamk_f32 v158, v52, 0xbe11bafb, v120
	v_fmac_f32_e32 v119, 0xbe11bafb, v50
	v_fma_f32 v120, 0xbe11bafb, v52, -v120
	v_fma_f32 v159, 0x3f575c64, v50, -v121
	v_fmamk_f32 v160, v52, 0x3f575c64, v122
	v_fmac_f32_e32 v121, 0x3f575c64, v50
	v_fma_f32 v122, 0x3f575c64, v52, -v122
	v_fma_f32 v161, 0xbf75a155, v50, -v123
	v_fmamk_f32 v162, v52, 0xbf75a155, v124
	v_fmac_f32_e32 v123, 0xbf75a155, v50
	v_fma_f32 v124, 0xbf75a155, v52, -v124
	v_fma_f32 v163, 0x3ed4b147, v50, -v54
	v_fmac_f32_e32 v54, 0x3ed4b147, v50
	v_fmamk_f32 v50, v52, 0x3ed4b147, v53
	v_fma_f32 v52, 0x3ed4b147, v52, -v53
	v_fma_f32 v53, 0xbf75a155, v56, -v125
	v_fmac_f32_e32 v125, 0xbf75a155, v56
	v_fma_f32 v164, 0x3f575c64, v56, -v126
	v_fmac_f32_e32 v126, 0x3f575c64, v56
	;; [unrolled: 2-line block ×5, first 2 shown]
	v_fmamk_f32 v56, v80, 0xbf75a155, v129
	v_fma_f32 v129, 0xbf75a155, v80, -v129
	v_fmamk_f32 v168, v80, 0x3f575c64, v130
	v_fma_f32 v130, 0x3f575c64, v80, -v130
	;; [unrolled: 2-line block ×5, first 2 shown]
	v_add_f32_e32 v36, v36, v20
	v_add_f32_e32 v49, v49, v21
	;; [unrolled: 1-line block ×112, first 2 shown]
	ds_write2_b64 v81, v[24:25], v[28:29] offset0:168 offset1:252
	ds_write2_b64 v93, v[32:33], v[36:37] offset0:80 offset1:164
	;; [unrolled: 1-line block ×4, first 2 shown]
	ds_write2_b64 v81, v[40:41], v[20:21] offset1:84
	ds_write_b64 v81, v[22:23] offset:6720
	s_and_saveexec_b32 s4, s1
	s_cbranch_execz .LBB0_23
; %bb.22:
	v_subrev_nc_u32_e32 v20, 40, v62
	v_mov_b32_e32 v21, 0
	v_add_nc_u32_e32 v40, 0x400, v81
	v_add_nc_u32_e32 v41, 0x800, v81
	v_add_nc_u32_e32 v42, 0x1000, v81
	v_cndmask_b32_e64 v20, v20, v66, s1
	v_add_nc_u32_e32 v43, 0x1400, v81
	v_mul_i32_i24_e32 v20, 10, v20
	v_lshlrev_b64 v[20:21], 3, v[20:21]
	v_add_co_u32 v36, s1, s12, v20
	v_add_co_ci_u32_e64 v37, s1, s13, v21, s1
	s_clause 0x4
	global_load_dwordx4 v[20:23], v[36:37], off offset:720
	global_load_dwordx4 v[24:27], v[36:37], off offset:656
	;; [unrolled: 1-line block ×5, first 2 shown]
	s_waitcnt vmcnt(4)
	v_mul_f32_e32 v44, v2, v23
	s_waitcnt vmcnt(3)
	v_mul_f32_e32 v45, v8, v25
	v_mul_f32_e32 v25, v9, v25
	;; [unrolled: 1-line block ×7, first 2 shown]
	s_waitcnt vmcnt(2)
	v_mul_f32_e32 v48, v18, v31
	v_mul_f32_e32 v31, v19, v31
	v_mul_f32_e32 v50, v16, v29
	s_waitcnt vmcnt(1)
	v_mul_f32_e32 v51, v6, v35
	v_fmac_f32_e32 v44, v3, v22
	v_fmac_f32_e32 v45, v9, v24
	v_fma_f32 v3, v8, v24, -v25
	v_fma_f32 v22, v2, v22, -v23
	v_mul_f32_e32 v49, v4, v33
	v_mul_f32_e32 v33, v5, v33
	;; [unrolled: 1-line block ×4, first 2 shown]
	s_waitcnt vmcnt(0)
	v_mul_f32_e32 v52, v14, v39
	v_mul_f32_e32 v53, v12, v37
	;; [unrolled: 1-line block ×4, first 2 shown]
	v_fmac_f32_e32 v46, v1, v20
	v_fmac_f32_e32 v47, v11, v26
	v_fma_f32 v1, v10, v26, -v27
	v_fma_f32 v20, v0, v20, -v21
	v_fmac_f32_e32 v48, v19, v30
	v_fma_f32 v18, v18, v30, -v31
	v_fmac_f32_e32 v50, v17, v28
	v_fmac_f32_e32 v51, v7, v34
	v_add_f32_e32 v7, v45, v44
	v_sub_f32_e32 v8, v3, v22
	v_add_f32_e32 v17, v3, v22
	v_sub_f32_e32 v19, v45, v44
	v_add_f32_e32 v30, v78, v45
	v_add_f32_e32 v3, v77, v3
	v_fma_f32 v0, v4, v32, -v33
	v_fma_f32 v2, v6, v34, -v35
	v_fma_f32 v4, v16, v28, -v29
	v_fmac_f32_e32 v49, v5, v32
	v_fmac_f32_e32 v52, v15, v38
	;; [unrolled: 1-line block ×3, first 2 shown]
	v_fma_f32 v5, v12, v36, -v37
	v_fma_f32 v6, v14, v38, -v39
	v_add_f32_e32 v9, v47, v46
	v_sub_f32_e32 v10, v1, v20
	v_add_f32_e32 v21, v1, v20
	v_sub_f32_e32 v23, v47, v46
	v_mul_f32_e32 v31, 0x3ed4b147, v7
	v_mul_f32_e32 v36, 0xbf68dda4, v19
	;; [unrolled: 1-line block ×3, first 2 shown]
	v_add_f32_e32 v30, v30, v47
	v_add_f32_e32 v1, v3, v1
	v_sub_f32_e32 v14, v2, v4
	v_add_f32_e32 v11, v49, v48
	v_sub_f32_e32 v12, v0, v18
	v_add_f32_e32 v13, v51, v50
	v_add_f32_e32 v15, v53, v52
	v_sub_f32_e32 v16, v5, v6
	v_add_f32_e32 v24, v0, v18
	v_sub_f32_e32 v25, v49, v48
	v_sub_f32_e32 v27, v51, v50
	;; [unrolled: 1-line block ×3, first 2 shown]
	v_mul_f32_e32 v32, 0xbf27a4f4, v9
	v_mul_f32_e32 v37, 0xbf4178ce, v23
	;; [unrolled: 1-line block ×10, first 2 shown]
	v_fmamk_f32 v3, v8, 0x3f68dda4, v31
	v_fmamk_f32 v127, v8, 0x3f4178ce, v54
	v_fmac_f32_e32 v54, 0xbf4178ce, v8
	v_fmac_f32_e32 v31, 0xbf68dda4, v8
	v_fma_f32 v8, 0x3ed4b147, v17, -v36
	v_add_f32_e32 v30, v30, v49
	v_add_f32_e32 v0, v1, v0
	v_mul_f32_e32 v95, 0x3f0a6770, v10
	v_mul_f32_e32 v97, 0x3f68dda4, v14
	v_add_f32_e32 v26, v2, v4
	v_add_f32_e32 v28, v5, v6
	v_mul_f32_e32 v33, 0xbf75a155, v11
	v_mul_f32_e32 v34, 0xbe11bafb, v13
	;; [unrolled: 1-line block ×33, first 2 shown]
	v_fmamk_f32 v47, v10, 0x3f4178ce, v32
	v_fmamk_f32 v122, v17, 0x3ed4b147, v36
	v_fmamk_f32 v128, v10, 0xbf7d64f0, v55
	v_fmamk_f32 v132, v17, 0xbf27a4f4, v59
	v_fmamk_f32 v137, v7, 0xbf75a155, v94
	v_fma_f32 v142, 0xbf75a155, v17, -v99
	v_fmac_f32_e32 v55, 0x3f7d64f0, v10
	v_fma_f32 v59, 0xbf27a4f4, v17, -v59
	v_fmamk_f32 v147, v7, 0xbe11bafb, v104
	v_fmac_f32_e32 v32, 0xbf4178ce, v10
	v_fma_f32 v10, 0xbf27a4f4, v21, -v37
	v_fmamk_f32 v36, v7, 0x3f575c64, v114
	v_fma_f32 v157, 0x3f575c64, v17, -v19
	v_add_f32_e32 v8, v77, v8
	v_add_f32_e32 v30, v30, v51
	;; [unrolled: 1-line block ×3, first 2 shown]
	v_fma_f32 v152, 0xbe11bafb, v17, -v109
	v_fma_f32 v1, 0xbf75a155, v7, -v94
	v_fmac_f32_e32 v99, 0xbf75a155, v17
	v_fmamk_f32 v138, v9, 0x3f575c64, v95
	v_fmamk_f32 v140, v13, 0x3ed4b147, v97
	v_fma_f32 v49, 0x3f575c64, v9, -v95
	v_fma_f32 v95, 0x3ed4b147, v13, -v97
	;; [unrolled: 1-line block ×3, first 2 shown]
	v_fmac_f32_e32 v109, 0xbe11bafb, v17
	v_mul_f32_e32 v116, 0xbf7d64f0, v12
	v_mul_f32_e32 v117, 0xbf4178ce, v14
	v_fmamk_f32 v119, v12, 0xbe903f40, v33
	v_fmamk_f32 v120, v14, 0xbf7d64f0, v34
	;; [unrolled: 1-line block ×16, first 2 shown]
	v_fma_f32 v143, 0x3f575c64, v21, -v100
	v_fma_f32 v144, 0xbf27a4f4, v24, -v101
	;; [unrolled: 1-line block ×4, first 2 shown]
	v_fmac_f32_e32 v56, 0xbf0a6770, v12
	v_fmac_f32_e32 v57, 0xbe903f40, v14
	;; [unrolled: 1-line block ×3, first 2 shown]
	v_fma_f32 v79, 0xbe11bafb, v21, -v79
	v_fma_f32 v80, 0x3f575c64, v24, -v80
	;; [unrolled: 1-line block ×4, first 2 shown]
	v_fmamk_f32 v148, v9, 0xbf75a155, v105
	v_fmamk_f32 v149, v11, 0x3ed4b147, v106
	;; [unrolled: 1-line block ×4, first 2 shown]
	v_fma_f32 v153, 0xbf75a155, v21, -v110
	v_fma_f32 v154, 0x3ed4b147, v24, -v111
	v_fma_f32 v155, 0x3f575c64, v26, -v112
	v_fma_f32 v156, 0xbf27a4f4, v28, -v113
	v_fmac_f32_e32 v33, 0x3e903f40, v12
	v_fmac_f32_e32 v34, 0x3f7d64f0, v14
	;; [unrolled: 1-line block ×3, first 2 shown]
	v_fma_f32 v12, 0xbf75a155, v24, -v38
	v_fma_f32 v14, 0xbe11bafb, v26, -v39
	;; [unrolled: 1-line block ×3, first 2 shown]
	v_fmamk_f32 v37, v9, 0x3ed4b147, v115
	v_fmamk_f32 v45, v15, 0xbf75a155, v118
	v_fma_f32 v158, 0x3ed4b147, v21, -v23
	v_fma_f32 v159, 0xbe11bafb, v24, -v25
	v_fma_f32 v160, 0xbf27a4f4, v26, -v27
	v_fma_f32 v161, 0xbf75a155, v28, -v29
	v_fma_f32 v94, 0xbf27a4f4, v11, -v96
	v_fma_f32 v96, 0xbe11bafb, v15, -v98
	v_fmac_f32_e32 v100, 0x3f575c64, v21
	v_fmac_f32_e32 v101, 0xbf27a4f4, v24
	;; [unrolled: 1-line block ×4, first 2 shown]
	v_fma_f32 v98, 0xbf75a155, v9, -v105
	v_fma_f32 v104, 0x3ed4b147, v11, -v106
	;; [unrolled: 1-line block ×4, first 2 shown]
	v_fmac_f32_e32 v110, 0xbf75a155, v21
	v_fmac_f32_e32 v111, 0x3ed4b147, v24
	;; [unrolled: 1-line block ×4, first 2 shown]
	v_fma_f32 v7, 0x3f575c64, v7, -v114
	v_fma_f32 v107, 0xbf75a155, v15, -v118
	v_fmac_f32_e32 v19, 0x3f575c64, v17
	v_fmac_f32_e32 v23, 0x3ed4b147, v21
	;; [unrolled: 1-line block ×5, first 2 shown]
	v_add_f32_e32 v3, v78, v3
	v_add_f32_e32 v15, v77, v122
	;; [unrolled: 1-line block ×20, first 2 shown]
	v_fmamk_f32 v38, v11, 0xbe11bafb, v116
	v_fma_f32 v9, 0x3ed4b147, v9, -v115
	v_add_f32_e32 v7, v78, v7
	v_add_f32_e32 v19, v77, v19
	;; [unrolled: 1-line block ×22, first 2 shown]
	v_fmamk_f32 v39, v13, 0xbf27a4f4, v117
	v_fma_f32 v11, 0xbe11bafb, v11, -v116
	v_add_f32_e32 v7, v9, v7
	v_add_f32_e32 v9, v23, v19
	v_add_f32_e32 v15, v124, v15
	v_add_f32_e32 v17, v129, v17
	v_add_f32_e32 v19, v134, v21
	v_add_f32_e32 v21, v139, v24
	v_add_f32_e32 v23, v144, v26
	v_add_f32_e32 v24, v56, v28
	v_add_f32_e32 v28, v149, v54
	v_add_f32_e32 v31, v33, v31
	v_add_f32_e32 v10, v38, v10
	v_add_f32_e32 v12, v159, v32
	v_add_f32_e32 v14, v14, v8
	v_add_f32_e32 v30, v30, v50
	v_add_f32_e32 v32, v0, v4
	v_add_f32_e32 v26, v80, v47
	v_add_f32_e32 v37, v154, v55
	v_add_f32_e32 v3, v119, v3
	v_add_f32_e32 v1, v94, v1
	v_add_f32_e32 v2, v101, v2
	v_add_f32_e32 v5, v104, v5
	v_add_f32_e32 v6, v111, v36
	v_add_f32_e32 v7, v11, v7
	v_add_f32_e32 v9, v25, v9
	v_add_f32_e32 v11, v125, v15
	v_add_f32_e32 v15, v130, v17
	v_add_f32_e32 v17, v135, v19
	v_add_f32_e32 v19, v140, v21
	v_add_f32_e32 v21, v145, v23
	v_add_f32_e32 v25, v150, v28
	v_add_f32_e32 v28, v34, v31
	v_add_f32_e32 v31, v39, v10
	v_add_f32_e32 v10, v16, v14
	v_add_f32_e32 v16, v30, v48
	v_add_f32_e32 v18, v32, v18
	v_fma_f32 v13, 0xbf27a4f4, v13, -v117
	v_add_f32_e32 v23, v57, v24
	v_add_f32_e32 v24, v92, v26
	;; [unrolled: 1-line block ×34, first 2 shown]
	ds_write2_b64 v40, v[10:11], v[8:9] offset0:84 offset1:168
	ds_write2_b64 v41, v[6:7], v[4:5] offset0:124 offset1:208
	;; [unrolled: 1-line block ×5, first 2 shown]
	ds_write_b64 v81, v[18:19] offset:7072
.LBB0_23:
	s_or_b32 exec_lo, exec_lo, s4
	s_waitcnt lgkmcnt(0)
	s_barrier
	buffer_gl0_inv
	ds_read_b64 v[2:3], v81
	v_sub_nc_u32_e32 v4, 0, v63
	s_add_u32 s4, s12, 0x1cd0
	s_addc_u32 s5, s13, 0
	s_mov_b32 s6, exec_lo
                                        ; implicit-def: $vgpr1
                                        ; implicit-def: $vgpr6
	v_cmpx_ne_u32_e32 0, v62
	s_xor_b32 s6, exec_lo, s6
	s_cbranch_execz .LBB0_25
; %bb.24:
	v_mov_b32_e32 v63, 0
	v_lshlrev_b64 v[0:1], 3, v[62:63]
	v_add_co_u32 v0, s1, s4, v0
	v_add_co_ci_u32_e64 v1, s1, s5, v1, s1
	global_load_dwordx2 v[5:6], v[0:1], off
	ds_read_b64 v[0:1], v4 offset:7392
	s_waitcnt lgkmcnt(0)
	v_sub_f32_e32 v7, v2, v0
	v_add_f32_e32 v8, v1, v3
	v_sub_f32_e32 v1, v3, v1
	v_add_f32_e32 v0, v0, v2
	v_mul_f32_e32 v3, 0.5, v7
	v_mul_f32_e32 v2, 0.5, v8
	;; [unrolled: 1-line block ×3, first 2 shown]
	s_waitcnt vmcnt(0)
	v_mul_f32_e32 v7, v6, v3
	v_fma_f32 v8, v2, v6, v1
	v_fma_f32 v1, v2, v6, -v1
	v_fma_f32 v9, 0.5, v0, v7
	v_fma_f32 v0, v0, 0.5, -v7
	v_fma_f32 v6, -v5, v3, v8
	v_fma_f32 v1, -v5, v3, v1
	v_fmac_f32_e32 v9, v5, v2
	v_fma_f32 v0, -v5, v2, v0
                                        ; implicit-def: $vgpr2_vgpr3
	ds_write_b32 v81, v9
.LBB0_25:
	s_or_saveexec_b32 s1, s6
	v_sub_nc_u32_e32 v5, 0, v67
	s_xor_b32 exec_lo, exec_lo, s1
	s_cbranch_execz .LBB0_27
; %bb.26:
	v_mov_b32_e32 v6, 0
	s_waitcnt lgkmcnt(0)
	v_add_f32_e32 v7, v2, v3
	v_sub_f32_e32 v0, v2, v3
	ds_read_b32 v1, v6 offset:3700
	s_waitcnt lgkmcnt(0)
	v_xor_b32_e32 v2, 0x80000000, v1
	v_mov_b32_e32 v1, v6
	ds_write_b32 v81, v7
	ds_write_b32 v6, v2 offset:3700
.LBB0_27:
	s_or_b32 exec_lo, exec_lo, s1
	v_mov_b32_e32 v67, 0
	ds_write_b32 v81, v6 offset:4
	ds_write_b64 v4, v[0:1] offset:7392
	s_waitcnt lgkmcnt(2)
	v_lshlrev_b64 v[2:3], 3, v[66:67]
	v_mov_b32_e32 v77, v67
	v_lshlrev_b64 v[7:8], 3, v[76:77]
	v_add_co_u32 v2, s1, s4, v2
	v_add_co_ci_u32_e64 v3, s1, s5, v3, s1
	v_mov_b32_e32 v76, v67
	v_add_co_u32 v7, s1, s4, v7
	global_load_dwordx2 v[2:3], v[2:3], off
	v_add_co_ci_u32_e64 v8, s1, s5, v8, s1
	v_lshlrev_b64 v[9:10], 3, v[75:76]
	v_mov_b32_e32 v75, v67
	global_load_dwordx2 v[7:8], v[7:8], off
	v_add_co_u32 v9, s1, s4, v9
	v_add_co_ci_u32_e64 v10, s1, s5, v10, s1
	v_lshlrev_b64 v[11:12], 3, v[74:75]
	v_mov_b32_e32 v74, v67
	global_load_dwordx2 v[9:10], v[9:10], off
	v_add_co_u32 v11, s1, s4, v11
	;; [unrolled: 5-line block ×4, first 2 shown]
	v_add_co_ci_u32_e64 v16, s1, s5, v16, s1
	v_lshlrev_b64 v[17:18], 3, v[71:72]
	v_mov_b32_e32 v71, v67
	global_load_dwordx2 v[15:16], v[15:16], off
	ds_read_b64 v[0:1], v87
	ds_read_b64 v[19:20], v4 offset:7040
	v_add_co_u32 v17, s1, s4, v17
	v_add_co_ci_u32_e64 v18, s1, s5, v18, s1
	global_load_dwordx2 v[17:18], v[17:18], off
	s_waitcnt lgkmcnt(0)
	v_sub_f32_e32 v6, v0, v19
	v_add_f32_e32 v21, v1, v20
	v_sub_f32_e32 v1, v1, v20
	v_add_f32_e32 v19, v0, v19
	v_mul_f32_e32 v6, 0.5, v6
	v_mul_f32_e32 v21, 0.5, v21
	;; [unrolled: 1-line block ×3, first 2 shown]
	s_waitcnt vmcnt(6)
	v_mul_f32_e32 v20, v3, v6
	v_fma_f32 v22, v21, v3, v1
	v_fma_f32 v3, v21, v3, -v1
	v_fma_f32 v0, 0.5, v19, v20
	v_fma_f32 v23, v19, 0.5, -v20
	v_lshlrev_b64 v[19:20], 3, v[70:71]
	v_fma_f32 v1, -v2, v6, v22
	v_fma_f32 v3, -v2, v6, v3
	v_fmac_f32_e32 v0, v2, v21
	v_fma_f32 v2, -v2, v21, v23
	v_mov_b32_e32 v70, v67
	v_add_co_u32 v19, s1, s4, v19
	v_add_co_ci_u32_e64 v20, s1, s5, v20, s1
	ds_write_b64 v87, v[0:1]
	ds_write_b64 v4, v[2:3] offset:7040
	ds_read_b64 v[0:1], v86
	ds_read_b64 v[2:3], v4 offset:6688
	global_load_dwordx2 v[19:20], v[19:20], off
	s_waitcnt lgkmcnt(0)
	v_add_f32_e32 v21, v1, v3
	v_sub_f32_e32 v1, v1, v3
	v_sub_f32_e32 v6, v0, v2
	v_add_f32_e32 v22, v0, v2
	v_mul_f32_e32 v21, 0.5, v21
	v_mul_f32_e32 v3, 0.5, v1
	v_lshlrev_b64 v[0:1], 3, v[69:70]
	v_mul_f32_e32 v6, 0.5, v6
	s_waitcnt vmcnt(6)
	v_fma_f32 v24, v21, v8, v3
	v_add_co_u32 v0, s1, s4, v0
	v_add_co_ci_u32_e64 v1, s1, s5, v1, s1
	v_mul_f32_e32 v23, v8, v6
	v_fma_f32 v8, v21, v8, -v3
	v_fma_f32 v3, -v7, v6, v24
	global_load_dwordx2 v[0:1], v[0:1], off
	v_fma_f32 v2, 0.5, v22, v23
	v_fma_f32 v22, v22, 0.5, -v23
	v_fma_f32 v8, -v7, v6, v8
	v_fmac_f32_e32 v2, v7, v21
	v_fma_f32 v7, -v7, v21, v22
	ds_write_b64 v86, v[2:3]
	ds_write_b64 v4, v[7:8] offset:6688
	ds_read_b64 v[2:3], v85
	ds_read_b64 v[6:7], v4 offset:6336
	s_waitcnt lgkmcnt(0)
	v_sub_f32_e32 v8, v2, v6
	v_add_f32_e32 v21, v3, v7
	v_sub_f32_e32 v3, v3, v7
	v_add_f32_e32 v6, v2, v6
	v_mul_f32_e32 v7, 0.5, v8
	v_mul_f32_e32 v8, 0.5, v21
	v_mul_f32_e32 v3, 0.5, v3
	s_waitcnt vmcnt(6)
	v_mul_f32_e32 v21, v10, v7
	v_fma_f32 v22, v8, v10, v3
	v_fma_f32 v10, v8, v10, -v3
	v_fma_f32 v2, 0.5, v6, v21
	v_fma_f32 v6, v6, 0.5, -v21
	v_fma_f32 v3, -v9, v7, v22
	v_fma_f32 v7, -v9, v7, v10
	v_fmac_f32_e32 v2, v9, v8
	v_fma_f32 v6, -v9, v8, v6
	ds_write_b64 v85, v[2:3]
	ds_write_b64 v4, v[6:7] offset:6336
	ds_read_b64 v[2:3], v84
	ds_read_b64 v[6:7], v4 offset:5984
	s_waitcnt lgkmcnt(0)
	v_sub_f32_e32 v8, v2, v6
	v_add_f32_e32 v9, v3, v7
	v_sub_f32_e32 v3, v3, v7
	v_add_f32_e32 v6, v2, v6
	v_mul_f32_e32 v7, 0.5, v8
	v_mul_f32_e32 v8, 0.5, v9
	v_mul_f32_e32 v3, 0.5, v3
	s_waitcnt vmcnt(5)
	v_mul_f32_e32 v9, v12, v7
	v_fma_f32 v10, v8, v12, v3
	v_fma_f32 v12, v8, v12, -v3
	v_fma_f32 v2, 0.5, v6, v9
	v_fma_f32 v6, v6, 0.5, -v9
	v_fma_f32 v3, -v11, v7, v10
	;; [unrolled: 22-line block ×5, first 2 shown]
	v_fma_f32 v7, -v17, v7, v11
	v_fmac_f32_e32 v2, v17, v8
	v_fma_f32 v6, -v17, v8, v6
	v_add_nc_u32_e32 v8, v82, v5
	ds_write_b64 v88, v[2:3]
	ds_write_b64 v4, v[6:7] offset:4928
	ds_read_b64 v[2:3], v8
	ds_read_b64 v[5:6], v4 offset:4576
	s_waitcnt lgkmcnt(0)
	v_sub_f32_e32 v7, v2, v5
	v_add_f32_e32 v9, v3, v6
	v_sub_f32_e32 v3, v3, v6
	v_add_f32_e32 v5, v2, v5
	v_mul_f32_e32 v6, 0.5, v7
	v_mul_f32_e32 v7, 0.5, v9
	v_mul_f32_e32 v3, 0.5, v3
	s_waitcnt vmcnt(1)
	v_mul_f32_e32 v9, v20, v6
	v_fma_f32 v10, v7, v20, v3
	v_fma_f32 v11, v7, v20, -v3
	v_fma_f32 v2, 0.5, v5, v9
	v_fma_f32 v5, v5, 0.5, -v9
	v_fma_f32 v3, -v19, v6, v10
	v_fma_f32 v6, -v19, v6, v11
	v_fmac_f32_e32 v2, v19, v7
	v_fma_f32 v5, -v19, v7, v5
	ds_write_b64 v8, v[2:3]
	ds_write_b64 v4, v[5:6] offset:4576
	ds_read_b64 v[2:3], v91
	ds_read_b64 v[5:6], v4 offset:4224
	s_waitcnt lgkmcnt(0)
	v_sub_f32_e32 v7, v2, v5
	v_add_f32_e32 v8, v3, v6
	v_sub_f32_e32 v3, v3, v6
	v_add_f32_e32 v2, v2, v5
	v_mul_f32_e32 v6, 0.5, v7
	v_mul_f32_e32 v7, 0.5, v8
	;; [unrolled: 1-line block ×3, first 2 shown]
	s_waitcnt vmcnt(0)
	v_mul_f32_e32 v5, v1, v6
	v_fma_f32 v8, v7, v1, v3
	v_fma_f32 v3, v7, v1, -v3
	v_fma_f32 v1, 0.5, v2, v5
	v_fma_f32 v5, v2, 0.5, -v5
	v_fma_f32 v2, -v0, v6, v8
	v_fma_f32 v6, -v0, v6, v3
	v_fmac_f32_e32 v1, v0, v7
	v_fma_f32 v5, -v0, v7, v5
	ds_write_b64 v91, v[1:2]
	ds_write_b64 v4, v[5:6] offset:4224
	s_and_saveexec_b32 s1, s0
	s_cbranch_execz .LBB0_29
; %bb.28:
	v_mov_b32_e32 v69, v67
	v_lshlrev_b64 v[0:1], 3, v[68:69]
	v_add_co_u32 v0, s0, s4, v0
	v_add_co_ci_u32_e64 v1, s0, s5, v1, s0
	global_load_dwordx2 v[0:1], v[0:1], off
	ds_read_b64 v[2:3], v83
	ds_read_b64 v[5:6], v4 offset:3872
	s_waitcnt lgkmcnt(0)
	v_sub_f32_e32 v7, v2, v5
	v_add_f32_e32 v8, v3, v6
	v_sub_f32_e32 v3, v3, v6
	v_add_f32_e32 v2, v2, v5
	v_mul_f32_e32 v6, 0.5, v7
	v_mul_f32_e32 v7, 0.5, v8
	v_mul_f32_e32 v3, 0.5, v3
	s_waitcnt vmcnt(0)
	v_mul_f32_e32 v5, v1, v6
	v_fma_f32 v8, v7, v1, v3
	v_fma_f32 v3, v7, v1, -v3
	v_fma_f32 v1, 0.5, v2, v5
	v_fma_f32 v5, v2, 0.5, -v5
	v_fma_f32 v2, -v0, v6, v8
	v_fma_f32 v6, -v0, v6, v3
	v_fmac_f32_e32 v1, v0, v7
	v_fma_f32 v5, -v0, v7, v5
	ds_write_b64 v83, v[1:2]
	ds_write_b64 v4, v[5:6] offset:3872
.LBB0_29:
	s_or_b32 exec_lo, exec_lo, s1
	s_waitcnt lgkmcnt(0)
	s_barrier
	buffer_gl0_inv
	s_and_saveexec_b32 s0, vcc_lo
	s_cbranch_execz .LBB0_32
; %bb.30:
	v_mul_lo_u32 v2, s3, v64
	v_mul_lo_u32 v3, s2, v65
	v_mad_u64_u32 v[0:1], null, s2, v64, 0
	v_lshl_add_u32 v22, v62, 3, 0
	v_mov_b32_e32 v63, 0
	v_lshlrev_b64 v[6:7], 3, v[60:61]
	v_add_nc_u32_e32 v8, 44, v62
	v_add_nc_u32_e32 v10, 0x58, v62
	;; [unrolled: 1-line block ×3, first 2 shown]
	v_add3_u32 v1, v1, v3, v2
	ds_read2_b64 v[2:5], v22 offset1:44
	v_lshlrev_b64 v[14:15], 3, v[62:63]
	v_mov_b32_e32 v9, v63
	v_mov_b32_e32 v11, v63
	v_lshlrev_b64 v[0:1], 3, v[0:1]
	v_mov_b32_e32 v13, v63
	v_add_nc_u32_e32 v18, 0xb0, v62
	v_mov_b32_e32 v19, v63
	v_add_nc_u32_e32 v20, 0xdc, v62
	v_mov_b32_e32 v21, v63
	v_add_co_u32 v0, vcc_lo, s10, v0
	v_add_co_ci_u32_e32 v1, vcc_lo, s11, v1, vcc_lo
	v_lshlrev_b64 v[16:17], 3, v[12:13]
	v_add_co_u32 v0, vcc_lo, v0, v6
	v_add_co_ci_u32_e32 v1, vcc_lo, v1, v7, vcc_lo
	v_lshlrev_b64 v[6:7], 3, v[8:9]
	;; [unrolled: 3-line block ×3, first 2 shown]
	v_add_co_u32 v14, vcc_lo, v0, v6
	v_add_co_ci_u32_e32 v15, vcc_lo, v1, v7, vcc_lo
	s_waitcnt lgkmcnt(0)
	global_store_dwordx2 v[8:9], v[2:3], off
	ds_read2_b64 v[6:9], v22 offset0:88 offset1:132
	v_lshlrev_b64 v[2:3], 3, v[10:11]
	ds_read2_b64 v[10:13], v22 offset0:176 offset1:220
	v_add_nc_u32_e32 v23, 0x800, v22
	v_add_nc_u32_e32 v24, 0x1000, v22
	v_add_co_u32 v2, vcc_lo, v0, v2
	v_add_co_ci_u32_e32 v3, vcc_lo, v1, v3, vcc_lo
	v_add_co_u32 v16, vcc_lo, v0, v16
	v_add_co_ci_u32_e32 v17, vcc_lo, v1, v17, vcc_lo
	;; [unrolled: 2-line block ×3, first 2 shown]
	global_store_dwordx2 v[14:15], v[4:5], off
	s_waitcnt lgkmcnt(1)
	global_store_dwordx2 v[2:3], v[6:7], off
	global_store_dwordx2 v[16:17], v[8:9], off
	s_waitcnt lgkmcnt(0)
	global_store_dwordx2 v[18:19], v[10:11], off
	v_lshlrev_b64 v[2:3], 3, v[20:21]
	v_add_nc_u32_e32 v6, 0x108, v62
	v_mov_b32_e32 v7, v63
	v_add_nc_u32_e32 v8, 0x134, v62
	v_mov_b32_e32 v9, v63
	v_add_nc_u32_e32 v18, 0x160, v62
	v_add_co_u32 v10, vcc_lo, v0, v2
	v_add_co_ci_u32_e32 v11, vcc_lo, v1, v3, vcc_lo
	ds_read2_b64 v[2:5], v23 offset0:8 offset1:52
	v_lshlrev_b64 v[14:15], 3, v[6:7]
	v_lshlrev_b64 v[16:17], 3, v[8:9]
	ds_read2_b64 v[6:9], v23 offset0:96 offset1:140
	v_mov_b32_e32 v19, v63
	v_add_nc_u32_e32 v20, 0x18c, v62
	v_add_co_u32 v14, vcc_lo, v0, v14
	v_lshlrev_b64 v[18:19], 3, v[18:19]
	v_add_co_ci_u32_e32 v15, vcc_lo, v1, v15, vcc_lo
	v_add_co_u32 v16, vcc_lo, v0, v16
	v_add_co_ci_u32_e32 v17, vcc_lo, v1, v17, vcc_lo
	v_add_co_u32 v18, vcc_lo, v0, v18
	v_add_co_ci_u32_e32 v19, vcc_lo, v1, v19, vcc_lo
	global_store_dwordx2 v[10:11], v[12:13], off
	s_waitcnt lgkmcnt(1)
	global_store_dwordx2 v[14:15], v[2:3], off
	global_store_dwordx2 v[16:17], v[4:5], off
	s_waitcnt lgkmcnt(0)
	global_store_dwordx2 v[18:19], v[6:7], off
	v_lshlrev_b64 v[2:3], 3, v[20:21]
	v_add_nc_u32_e32 v10, 0x1e4, v62
	v_mov_b32_e32 v11, v63
	v_add_nc_u32_e32 v6, 0x1b8, v62
	v_mov_b32_e32 v7, v63
	v_add_nc_u32_e32 v18, 0x210, v62
	v_add_co_u32 v14, vcc_lo, v0, v2
	v_add_co_ci_u32_e32 v15, vcc_lo, v1, v3, vcc_lo
	ds_read2_b64 v[2:5], v23 offset0:184 offset1:228
	v_lshlrev_b64 v[16:17], 3, v[10:11]
	ds_read2_b64 v[10:13], v24 offset0:16 offset1:60
	v_lshlrev_b64 v[6:7], 3, v[6:7]
	v_mov_b32_e32 v19, v63
	v_add_nc_u32_e32 v20, 0x23c, v62
	v_add_co_u32 v6, vcc_lo, v0, v6
	v_lshlrev_b64 v[18:19], 3, v[18:19]
	v_add_co_ci_u32_e32 v7, vcc_lo, v1, v7, vcc_lo
	v_add_co_u32 v16, vcc_lo, v0, v16
	v_add_co_ci_u32_e32 v17, vcc_lo, v1, v17, vcc_lo
	v_add_co_u32 v18, vcc_lo, v0, v18
	v_add_co_ci_u32_e32 v19, vcc_lo, v1, v19, vcc_lo
	global_store_dwordx2 v[14:15], v[8:9], off
	s_waitcnt lgkmcnt(1)
	global_store_dwordx2 v[6:7], v[2:3], off
	global_store_dwordx2 v[16:17], v[4:5], off
	s_waitcnt lgkmcnt(0)
	global_store_dwordx2 v[18:19], v[10:11], off
	v_lshlrev_b64 v[2:3], 3, v[20:21]
	v_add_nc_u32_e32 v6, 0x268, v62
	v_mov_b32_e32 v7, v63
	v_add_nc_u32_e32 v8, 0x294, v62
	v_mov_b32_e32 v9, v63
	v_add_nc_u32_e32 v18, 0x2c0, v62
	v_add_co_u32 v10, vcc_lo, v0, v2
	v_add_co_ci_u32_e32 v11, vcc_lo, v1, v3, vcc_lo
	ds_read2_b64 v[2:5], v24 offset0:104 offset1:148
	v_lshlrev_b64 v[14:15], 3, v[6:7]
	v_lshlrev_b64 v[16:17], 3, v[8:9]
	ds_read2_b64 v[6:9], v24 offset0:192 offset1:236
	v_mov_b32_e32 v19, v63
	v_add_nc_u32_e32 v20, 0x2ec, v62
	v_add_co_u32 v14, vcc_lo, v0, v14
	v_lshlrev_b64 v[18:19], 3, v[18:19]
	v_add_co_ci_u32_e32 v15, vcc_lo, v1, v15, vcc_lo
	v_add_co_u32 v16, vcc_lo, v0, v16
	v_add_co_ci_u32_e32 v17, vcc_lo, v1, v17, vcc_lo
	v_add_co_u32 v18, vcc_lo, v0, v18
	v_add_co_ci_u32_e32 v19, vcc_lo, v1, v19, vcc_lo
	global_store_dwordx2 v[10:11], v[12:13], off
	s_waitcnt lgkmcnt(1)
	global_store_dwordx2 v[14:15], v[2:3], off
	global_store_dwordx2 v[16:17], v[4:5], off
	s_waitcnt lgkmcnt(0)
	global_store_dwordx2 v[18:19], v[6:7], off
	v_lshlrev_b64 v[2:3], 3, v[20:21]
	v_add_nc_u32_e32 v6, 0x318, v62
	v_mov_b32_e32 v7, v63
	v_add_nc_u32_e32 v4, 0x1800, v22
	v_add_nc_u32_e32 v10, 0x344, v62
	v_mov_b32_e32 v11, v63
	v_add_co_u32 v12, vcc_lo, v0, v2
	v_lshlrev_b64 v[6:7], 3, v[6:7]
	v_add_co_ci_u32_e32 v13, vcc_lo, v1, v3, vcc_lo
	ds_read2_b64 v[2:5], v4 offset0:24 offset1:68
	v_add_nc_u32_e32 v16, 0x370, v62
	v_mov_b32_e32 v17, v63
	v_lshlrev_b64 v[10:11], 3, v[10:11]
	ds_read_b64 v[14:15], v22 offset:7040
	v_add_co_u32 v6, vcc_lo, v0, v6
	v_lshlrev_b64 v[16:17], 3, v[16:17]
	v_add_co_ci_u32_e32 v7, vcc_lo, v1, v7, vcc_lo
	v_add_co_u32 v10, vcc_lo, v0, v10
	v_add_co_ci_u32_e32 v11, vcc_lo, v1, v11, vcc_lo
	v_add_co_u32 v16, vcc_lo, v0, v16
	v_add_co_ci_u32_e32 v17, vcc_lo, v1, v17, vcc_lo
	v_cmp_eq_u32_e32 vcc_lo, 43, v62
	global_store_dwordx2 v[12:13], v[8:9], off
	s_waitcnt lgkmcnt(1)
	global_store_dwordx2 v[6:7], v[2:3], off
	global_store_dwordx2 v[10:11], v[4:5], off
	s_waitcnt lgkmcnt(0)
	global_store_dwordx2 v[16:17], v[14:15], off
	s_and_b32 exec_lo, exec_lo, vcc_lo
	s_cbranch_execz .LBB0_32
; %bb.31:
	ds_read_b64 v[2:3], v63 offset:7392
	v_add_co_u32 v0, vcc_lo, 0x1800, v0
	v_add_co_ci_u32_e32 v1, vcc_lo, 0, v1, vcc_lo
	s_waitcnt lgkmcnt(0)
	global_store_dwordx2 v[0:1], v[2:3], off offset:1248
.LBB0_32:
	s_endpgm
	.section	.rodata,"a",@progbits
	.p2align	6, 0x0
	.amdhsa_kernel fft_rtc_fwd_len924_factors_2_2_3_7_11_wgs_44_tpt_44_halfLds_sp_op_CI_CI_unitstride_sbrr_R2C_dirReg
		.amdhsa_group_segment_fixed_size 0
		.amdhsa_private_segment_fixed_size 0
		.amdhsa_kernarg_size 104
		.amdhsa_user_sgpr_count 6
		.amdhsa_user_sgpr_private_segment_buffer 1
		.amdhsa_user_sgpr_dispatch_ptr 0
		.amdhsa_user_sgpr_queue_ptr 0
		.amdhsa_user_sgpr_kernarg_segment_ptr 1
		.amdhsa_user_sgpr_dispatch_id 0
		.amdhsa_user_sgpr_flat_scratch_init 0
		.amdhsa_user_sgpr_private_segment_size 0
		.amdhsa_wavefront_size32 1
		.amdhsa_uses_dynamic_stack 0
		.amdhsa_system_sgpr_private_segment_wavefront_offset 0
		.amdhsa_system_sgpr_workgroup_id_x 1
		.amdhsa_system_sgpr_workgroup_id_y 0
		.amdhsa_system_sgpr_workgroup_id_z 0
		.amdhsa_system_sgpr_workgroup_info 0
		.amdhsa_system_vgpr_workitem_id 0
		.amdhsa_next_free_vgpr 172
		.amdhsa_next_free_sgpr 27
		.amdhsa_reserve_vcc 1
		.amdhsa_reserve_flat_scratch 0
		.amdhsa_float_round_mode_32 0
		.amdhsa_float_round_mode_16_64 0
		.amdhsa_float_denorm_mode_32 3
		.amdhsa_float_denorm_mode_16_64 3
		.amdhsa_dx10_clamp 1
		.amdhsa_ieee_mode 1
		.amdhsa_fp16_overflow 0
		.amdhsa_workgroup_processor_mode 1
		.amdhsa_memory_ordered 1
		.amdhsa_forward_progress 0
		.amdhsa_shared_vgpr_count 0
		.amdhsa_exception_fp_ieee_invalid_op 0
		.amdhsa_exception_fp_denorm_src 0
		.amdhsa_exception_fp_ieee_div_zero 0
		.amdhsa_exception_fp_ieee_overflow 0
		.amdhsa_exception_fp_ieee_underflow 0
		.amdhsa_exception_fp_ieee_inexact 0
		.amdhsa_exception_int_div_zero 0
	.end_amdhsa_kernel
	.text
.Lfunc_end0:
	.size	fft_rtc_fwd_len924_factors_2_2_3_7_11_wgs_44_tpt_44_halfLds_sp_op_CI_CI_unitstride_sbrr_R2C_dirReg, .Lfunc_end0-fft_rtc_fwd_len924_factors_2_2_3_7_11_wgs_44_tpt_44_halfLds_sp_op_CI_CI_unitstride_sbrr_R2C_dirReg
                                        ; -- End function
	.section	.AMDGPU.csdata,"",@progbits
; Kernel info:
; codeLenInByte = 15156
; NumSgprs: 29
; NumVgprs: 172
; ScratchSize: 0
; MemoryBound: 0
; FloatMode: 240
; IeeeMode: 1
; LDSByteSize: 0 bytes/workgroup (compile time only)
; SGPRBlocks: 3
; VGPRBlocks: 21
; NumSGPRsForWavesPerEU: 29
; NumVGPRsForWavesPerEU: 172
; Occupancy: 5
; WaveLimiterHint : 1
; COMPUTE_PGM_RSRC2:SCRATCH_EN: 0
; COMPUTE_PGM_RSRC2:USER_SGPR: 6
; COMPUTE_PGM_RSRC2:TRAP_HANDLER: 0
; COMPUTE_PGM_RSRC2:TGID_X_EN: 1
; COMPUTE_PGM_RSRC2:TGID_Y_EN: 0
; COMPUTE_PGM_RSRC2:TGID_Z_EN: 0
; COMPUTE_PGM_RSRC2:TIDIG_COMP_CNT: 0
	.text
	.p2alignl 6, 3214868480
	.fill 48, 4, 3214868480
	.type	__hip_cuid_fff51fa278bc3a58,@object ; @__hip_cuid_fff51fa278bc3a58
	.section	.bss,"aw",@nobits
	.globl	__hip_cuid_fff51fa278bc3a58
__hip_cuid_fff51fa278bc3a58:
	.byte	0                               ; 0x0
	.size	__hip_cuid_fff51fa278bc3a58, 1

	.ident	"AMD clang version 19.0.0git (https://github.com/RadeonOpenCompute/llvm-project roc-6.4.0 25133 c7fe45cf4b819c5991fe208aaa96edf142730f1d)"
	.section	".note.GNU-stack","",@progbits
	.addrsig
	.addrsig_sym __hip_cuid_fff51fa278bc3a58
	.amdgpu_metadata
---
amdhsa.kernels:
  - .args:
      - .actual_access:  read_only
        .address_space:  global
        .offset:         0
        .size:           8
        .value_kind:     global_buffer
      - .offset:         8
        .size:           8
        .value_kind:     by_value
      - .actual_access:  read_only
        .address_space:  global
        .offset:         16
        .size:           8
        .value_kind:     global_buffer
      - .actual_access:  read_only
        .address_space:  global
        .offset:         24
        .size:           8
        .value_kind:     global_buffer
      - .actual_access:  read_only
        .address_space:  global
        .offset:         32
        .size:           8
        .value_kind:     global_buffer
      - .offset:         40
        .size:           8
        .value_kind:     by_value
      - .actual_access:  read_only
        .address_space:  global
        .offset:         48
        .size:           8
        .value_kind:     global_buffer
      - .actual_access:  read_only
        .address_space:  global
        .offset:         56
        .size:           8
        .value_kind:     global_buffer
      - .offset:         64
        .size:           4
        .value_kind:     by_value
      - .actual_access:  read_only
        .address_space:  global
        .offset:         72
        .size:           8
        .value_kind:     global_buffer
      - .actual_access:  read_only
        .address_space:  global
        .offset:         80
        .size:           8
        .value_kind:     global_buffer
      - .actual_access:  read_only
        .address_space:  global
        .offset:         88
        .size:           8
        .value_kind:     global_buffer
      - .actual_access:  write_only
        .address_space:  global
        .offset:         96
        .size:           8
        .value_kind:     global_buffer
    .group_segment_fixed_size: 0
    .kernarg_segment_align: 8
    .kernarg_segment_size: 104
    .language:       OpenCL C
    .language_version:
      - 2
      - 0
    .max_flat_workgroup_size: 44
    .name:           fft_rtc_fwd_len924_factors_2_2_3_7_11_wgs_44_tpt_44_halfLds_sp_op_CI_CI_unitstride_sbrr_R2C_dirReg
    .private_segment_fixed_size: 0
    .sgpr_count:     29
    .sgpr_spill_count: 0
    .symbol:         fft_rtc_fwd_len924_factors_2_2_3_7_11_wgs_44_tpt_44_halfLds_sp_op_CI_CI_unitstride_sbrr_R2C_dirReg.kd
    .uniform_work_group_size: 1
    .uses_dynamic_stack: false
    .vgpr_count:     172
    .vgpr_spill_count: 0
    .wavefront_size: 32
    .workgroup_processor_mode: 1
amdhsa.target:   amdgcn-amd-amdhsa--gfx1030
amdhsa.version:
  - 1
  - 2
...

	.end_amdgpu_metadata
